;; amdgpu-corpus repo=ROCm/rocFFT kind=compiled arch=gfx906 opt=O3
	.text
	.amdgcn_target "amdgcn-amd-amdhsa--gfx906"
	.amdhsa_code_object_version 6
	.protected	bluestein_single_back_len1428_dim1_half_op_CI_CI ; -- Begin function bluestein_single_back_len1428_dim1_half_op_CI_CI
	.globl	bluestein_single_back_len1428_dim1_half_op_CI_CI
	.p2align	8
	.type	bluestein_single_back_len1428_dim1_half_op_CI_CI,@function
bluestein_single_back_len1428_dim1_half_op_CI_CI: ; @bluestein_single_back_len1428_dim1_half_op_CI_CI
; %bb.0:
	s_load_dwordx4 s[0:3], s[4:5], 0x28
	v_mul_u32_u24_e32 v1, 0x227, v0
	v_add_u32_sdwa v16, s6, v1 dst_sel:DWORD dst_unused:UNUSED_PAD src0_sel:DWORD src1_sel:WORD_1
	v_mov_b32_e32 v17, 0
	s_waitcnt lgkmcnt(0)
	v_cmp_gt_u64_e32 vcc, s[0:1], v[16:17]
	s_and_saveexec_b64 s[0:1], vcc
	s_cbranch_execz .LBB0_23
; %bb.1:
	s_load_dwordx2 s[6:7], s[4:5], 0x0
	s_load_dwordx2 s[12:13], s[4:5], 0x38
	s_movk_i32 s0, 0x77
	v_mul_lo_u16_sdwa v1, v1, s0 dst_sel:DWORD dst_unused:UNUSED_PAD src0_sel:WORD_1 src1_sel:DWORD
	v_sub_u16_e32 v39, v0, v1
	s_movk_i32 s0, 0x54
	v_cmp_gt_u16_e64 s[0:1], s0, v39
	v_lshlrev_b32_e32 v38, 2, v39
	s_and_saveexec_b64 s[8:9], s[0:1]
	s_cbranch_execz .LBB0_3
; %bb.2:
	s_load_dwordx2 s[10:11], s[4:5], 0x18
	s_waitcnt lgkmcnt(0)
	v_mov_b32_e32 v12, s7
	s_load_dwordx4 s[16:19], s[10:11], 0x0
	s_waitcnt lgkmcnt(0)
	v_mad_u64_u32 v[0:1], s[10:11], s18, v16, 0
	v_mad_u64_u32 v[2:3], s[10:11], s16, v39, 0
	;; [unrolled: 1-line block ×4, first 2 shown]
	v_mov_b32_e32 v1, v4
	v_lshlrev_b64 v[0:1], 2, v[0:1]
	v_mov_b32_e32 v3, v5
	v_mov_b32_e32 v6, s3
	v_lshlrev_b64 v[2:3], 2, v[2:3]
	v_add_co_u32_e32 v0, vcc, s2, v0
	v_addc_co_u32_e32 v1, vcc, v6, v1, vcc
	v_add_co_u32_e32 v0, vcc, v0, v2
	s_mul_i32 s2, s17, 0x150
	s_mul_hi_u32 s3, s16, 0x150
	v_addc_co_u32_e32 v1, vcc, v1, v3, vcc
	s_add_i32 s2, s3, s2
	s_mul_i32 s3, s16, 0x150
	v_mov_b32_e32 v3, s2
	v_add_co_u32_e32 v2, vcc, s3, v0
	v_addc_co_u32_e32 v3, vcc, v1, v3, vcc
	global_load_dword v4, v[0:1], off
	global_load_dword v5, v[2:3], off
	global_load_dword v6, v38, s[6:7]
	global_load_dword v7, v38, s[6:7] offset:336
	v_mov_b32_e32 v1, s2
	v_add_co_u32_e32 v0, vcc, s3, v2
	v_addc_co_u32_e32 v1, vcc, v3, v1, vcc
	global_load_dword v2, v[0:1], off
	global_load_dword v3, v38, s[6:7] offset:672
	v_mov_b32_e32 v8, s2
	v_add_co_u32_e32 v0, vcc, s3, v0
	v_addc_co_u32_e32 v1, vcc, v1, v8, vcc
	global_load_dword v8, v[0:1], off
	;; [unrolled: 5-line block ×3, first 2 shown]
	global_load_dword v11, v38, s[6:7] offset:1344
	v_add_co_u32_e32 v17, vcc, s6, v38
	v_addc_co_u32_e32 v12, vcc, 0, v12, vcc
	v_mov_b32_e32 v18, s2
	v_add_co_u32_e32 v0, vcc, s3, v0
	v_addc_co_u32_e32 v1, vcc, v1, v18, vcc
	global_load_dword v13, v38, s[6:7] offset:1680
	global_load_dword v14, v38, s[6:7] offset:2016
	;; [unrolled: 1-line block ×3, first 2 shown]
	global_load_dword v18, v[0:1], off
	v_mov_b32_e32 v19, s2
	v_add_co_u32_e32 v0, vcc, s3, v0
	v_addc_co_u32_e32 v1, vcc, v1, v19, vcc
	global_load_dword v19, v[0:1], off
	v_mov_b32_e32 v20, s2
	v_add_co_u32_e32 v0, vcc, s3, v0
	v_addc_co_u32_e32 v1, vcc, v1, v20, vcc
	s_movk_i32 s10, 0x1000
	v_mov_b32_e32 v27, s2
	s_waitcnt vmcnt(14)
	v_lshrrev_b32_e32 v21, 16, v4
	s_waitcnt vmcnt(12)
	v_mul_f16_sdwa v22, v6, v4 dst_sel:DWORD dst_unused:UNUSED_PAD src0_sel:WORD_1 src1_sel:DWORD
	v_mul_f16_sdwa v23, v6, v21 dst_sel:DWORD dst_unused:UNUSED_PAD src0_sel:WORD_1 src1_sel:DWORD
	v_fma_f16 v21, v6, v21, -v22
	v_lshrrev_b32_e32 v22, 16, v5
	s_waitcnt vmcnt(11)
	v_mul_f16_sdwa v24, v7, v5 dst_sel:DWORD dst_unused:UNUSED_PAD src0_sel:WORD_1 src1_sel:DWORD
	v_fma_f16 v4, v6, v4, v23
	v_mul_f16_sdwa v6, v7, v22 dst_sel:DWORD dst_unused:UNUSED_PAD src0_sel:WORD_1 src1_sel:DWORD
	s_waitcnt vmcnt(10)
	v_lshrrev_b32_e32 v23, 16, v2
	v_fma_f16 v22, v7, v22, -v24
	s_waitcnt vmcnt(9)
	v_mul_f16_sdwa v24, v3, v2 dst_sel:DWORD dst_unused:UNUSED_PAD src0_sel:WORD_1 src1_sel:DWORD
	v_pack_b32_f16 v4, v4, v21
	v_fma_f16 v5, v7, v5, v6
	v_mul_f16_sdwa v6, v3, v23 dst_sel:DWORD dst_unused:UNUSED_PAD src0_sel:WORD_1 src1_sel:DWORD
	s_waitcnt vmcnt(8)
	v_lshrrev_b32_e32 v21, 16, v8
	v_fma_f16 v7, v3, v23, -v24
	s_waitcnt vmcnt(7)
	v_mul_f16_sdwa v23, v9, v8 dst_sel:DWORD dst_unused:UNUSED_PAD src0_sel:WORD_1 src1_sel:DWORD
	v_fma_f16 v2, v3, v2, v6
	v_mul_f16_sdwa v3, v9, v21 dst_sel:DWORD dst_unused:UNUSED_PAD src0_sel:WORD_1 src1_sel:DWORD
	v_fma_f16 v6, v9, v21, -v23
	v_fma_f16 v3, v9, v8, v3
	v_pack_b32_f16 v3, v3, v6
	global_load_dword v6, v[0:1], off
	v_pack_b32_f16 v5, v5, v22
	v_pack_b32_f16 v2, v2, v7
	ds_write2_b32 v38, v4, v5 offset1:84
	ds_write2_b32 v38, v2, v3 offset0:168 offset1:252
	v_mov_b32_e32 v2, s2
	v_add_co_u32_e32 v0, vcc, s3, v0
	v_addc_co_u32_e32 v1, vcc, v1, v2, vcc
	global_load_dword v7, v[0:1], off
	global_load_dword v8, v38, s[6:7] offset:2688
	v_add_co_u32_e32 v0, vcc, s3, v0
	v_addc_co_u32_e32 v1, vcc, v1, v2, vcc
	global_load_dword v9, v[0:1], off
	s_waitcnt vmcnt(10)
	v_lshrrev_b32_e32 v21, 16, v10
	s_waitcnt vmcnt(9)
	v_mul_f16_sdwa v22, v11, v10 dst_sel:DWORD dst_unused:UNUSED_PAD src0_sel:WORD_1 src1_sel:DWORD
	v_mul_f16_sdwa v4, v11, v21 dst_sel:DWORD dst_unused:UNUSED_PAD src0_sel:WORD_1 src1_sel:DWORD
	v_add_co_u32_e32 v0, vcc, s3, v0
	v_fma_f16 v5, v11, v21, -v22
	v_fma_f16 v4, v11, v10, v4
	v_addc_co_u32_e32 v1, vcc, v1, v2, vcc
	global_load_dword v10, v38, s[6:7] offset:3024
	global_load_dword v11, v[0:1], off
	global_load_dword v20, v38, s[6:7] offset:3360
	v_add_co_u32_e32 v0, vcc, s3, v0
	v_addc_co_u32_e32 v1, vcc, v1, v2, vcc
	global_load_dword v21, v[0:1], off
	v_add_co_u32_e32 v0, vcc, s3, v0
	v_addc_co_u32_e32 v1, vcc, v1, v2, vcc
	global_load_dword v22, v38, s[6:7] offset:3696
	global_load_dword v23, v[0:1], off
	global_load_dword v24, v38, s[6:7] offset:4032
	v_add_co_u32_e32 v0, vcc, s3, v0
	v_addc_co_u32_e32 v1, vcc, v1, v2, vcc
	v_add_co_u32_e32 v2, vcc, s10, v17
	global_load_dword v25, v[0:1], off
	v_addc_co_u32_e32 v3, vcc, 0, v12, vcc
	global_load_dword v12, v[2:3], off offset:272
	v_mov_b32_e32 v17, s2
	v_add_co_u32_e32 v0, vcc, s3, v0
	v_addc_co_u32_e32 v1, vcc, v1, v17, vcc
	global_load_dword v17, v[0:1], off
	global_load_dword v26, v[2:3], off offset:608
	v_add_co_u32_e32 v0, vcc, s3, v0
	v_addc_co_u32_e32 v1, vcc, v1, v27, vcc
	global_load_dword v27, v[0:1], off
	global_load_dword v28, v[2:3], off offset:944
	v_pack_b32_f16 v4, v4, v5
	v_mov_b32_e32 v5, s2
	v_add_co_u32_e32 v0, vcc, s3, v0
	v_addc_co_u32_e32 v1, vcc, v1, v5, vcc
	global_load_dword v5, v[0:1], off
	global_load_dword v29, v[2:3], off offset:1280
	s_waitcnt vmcnt(20)
	v_lshrrev_b32_e32 v0, 16, v18
	v_mul_f16_sdwa v1, v13, v0 dst_sel:DWORD dst_unused:UNUSED_PAD src0_sel:WORD_1 src1_sel:DWORD
	v_mul_f16_sdwa v2, v13, v18 dst_sel:DWORD dst_unused:UNUSED_PAD src0_sel:WORD_1 src1_sel:DWORD
	v_fma_f16 v1, v13, v18, v1
	v_fma_f16 v0, v13, v0, -v2
	v_pack_b32_f16 v0, v1, v0
	v_add_u32_e32 v1, 0x400, v38
	ds_write2_b32 v1, v4, v0 offset0:80 offset1:164
	s_waitcnt vmcnt(19)
	v_lshrrev_b32_e32 v0, 16, v19
	v_mul_f16_sdwa v1, v14, v0 dst_sel:DWORD dst_unused:UNUSED_PAD src0_sel:WORD_1 src1_sel:DWORD
	v_mul_f16_sdwa v2, v14, v19 dst_sel:DWORD dst_unused:UNUSED_PAD src0_sel:WORD_1 src1_sel:DWORD
	v_fma_f16 v1, v14, v19, v1
	v_fma_f16 v0, v14, v0, -v2
	v_pack_b32_f16 v0, v1, v0
	s_waitcnt vmcnt(18)
	v_lshrrev_b32_e32 v1, 16, v6
	v_mul_f16_sdwa v2, v15, v1 dst_sel:DWORD dst_unused:UNUSED_PAD src0_sel:WORD_1 src1_sel:DWORD
	v_mul_f16_sdwa v3, v15, v6 dst_sel:DWORD dst_unused:UNUSED_PAD src0_sel:WORD_1 src1_sel:DWORD
	v_fma_f16 v2, v15, v6, v2
	v_fma_f16 v1, v15, v1, -v3
	v_pack_b32_f16 v1, v2, v1
	v_add_u32_e32 v2, 0x600, v38
	ds_write2_b32 v2, v0, v1 offset0:120 offset1:204
	s_waitcnt vmcnt(17)
	v_lshrrev_b32_e32 v0, 16, v7
	s_waitcnt vmcnt(16)
	v_mul_f16_sdwa v1, v8, v0 dst_sel:DWORD dst_unused:UNUSED_PAD src0_sel:WORD_1 src1_sel:DWORD
	v_mul_f16_sdwa v2, v8, v7 dst_sel:DWORD dst_unused:UNUSED_PAD src0_sel:WORD_1 src1_sel:DWORD
	v_fma_f16 v1, v8, v7, v1
	v_fma_f16 v0, v8, v0, -v2
	v_pack_b32_f16 v0, v1, v0
	s_waitcnt vmcnt(15)
	v_lshrrev_b32_e32 v1, 16, v9
	s_waitcnt vmcnt(14)
	v_mul_f16_sdwa v2, v10, v1 dst_sel:DWORD dst_unused:UNUSED_PAD src0_sel:WORD_1 src1_sel:DWORD
	v_mul_f16_sdwa v3, v10, v9 dst_sel:DWORD dst_unused:UNUSED_PAD src0_sel:WORD_1 src1_sel:DWORD
	v_fma_f16 v2, v10, v9, v2
	v_fma_f16 v1, v10, v1, -v3
	v_pack_b32_f16 v1, v2, v1
	v_add_u32_e32 v2, 0x800, v38
	ds_write2_b32 v2, v0, v1 offset0:160 offset1:244
	s_waitcnt vmcnt(13)
	v_lshrrev_b32_e32 v0, 16, v11
	s_waitcnt vmcnt(12)
	v_mul_f16_sdwa v1, v20, v0 dst_sel:DWORD dst_unused:UNUSED_PAD src0_sel:WORD_1 src1_sel:DWORD
	v_mul_f16_sdwa v2, v20, v11 dst_sel:DWORD dst_unused:UNUSED_PAD src0_sel:WORD_1 src1_sel:DWORD
	v_fma_f16 v1, v20, v11, v1
	v_fma_f16 v0, v20, v0, -v2
	v_pack_b32_f16 v0, v1, v0
	s_waitcnt vmcnt(11)
	v_lshrrev_b32_e32 v1, 16, v21
	s_waitcnt vmcnt(10)
	;; [unrolled: 18-line block ×4, first 2 shown]
	v_mul_f16_sdwa v2, v28, v1 dst_sel:DWORD dst_unused:UNUSED_PAD src0_sel:WORD_1 src1_sel:DWORD
	v_mul_f16_sdwa v3, v28, v27 dst_sel:DWORD dst_unused:UNUSED_PAD src0_sel:WORD_1 src1_sel:DWORD
	v_fma_f16 v2, v28, v27, v2
	v_fma_f16 v1, v28, v1, -v3
	v_pack_b32_f16 v1, v2, v1
	v_add_u32_e32 v2, 0x1000, v38
	ds_write2_b32 v2, v0, v1 offset0:152 offset1:236
	s_waitcnt vmcnt(1)
	v_lshrrev_b32_e32 v0, 16, v5
	s_waitcnt vmcnt(0)
	v_mul_f16_sdwa v1, v29, v0 dst_sel:DWORD dst_unused:UNUSED_PAD src0_sel:WORD_1 src1_sel:DWORD
	v_mul_f16_sdwa v2, v29, v5 dst_sel:DWORD dst_unused:UNUSED_PAD src0_sel:WORD_1 src1_sel:DWORD
	v_fma_f16 v1, v29, v5, v1
	v_fma_f16 v0, v29, v0, -v2
	v_pack_b32_f16 v0, v1, v0
	ds_write_b32 v38, v0 offset:5376
.LBB0_3:
	s_or_b64 exec, exec, s[8:9]
	s_load_dwordx2 s[2:3], s[4:5], 0x20
	s_load_dwordx2 s[14:15], s[4:5], 0x8
	v_mov_b32_e32 v0, 0
	s_waitcnt lgkmcnt(0)
	s_barrier
	s_waitcnt lgkmcnt(0)
                                        ; implicit-def: $vgpr8
                                        ; implicit-def: $vgpr13
                                        ; implicit-def: $vgpr11
                                        ; implicit-def: $vgpr7
                                        ; implicit-def: $vgpr5
                                        ; implicit-def: $vgpr3
                                        ; implicit-def: $vgpr15
                                        ; implicit-def: $vgpr19
                                        ; implicit-def: $vgpr95
	s_and_saveexec_b64 s[4:5], s[0:1]
	s_cbranch_execz .LBB0_5
; %bb.4:
	v_add_u32_e32 v2, 0x400, v38
	v_add_u32_e32 v8, 0xe00, v38
	ds_read2_b32 v[0:1], v38 offset1:84
	ds_read2_b32 v[18:19], v38 offset0:168 offset1:252
	ds_read2_b32 v[14:15], v2 offset0:80 offset1:164
	v_add_u32_e32 v2, 0x600, v38
	v_add_u32_e32 v4, 0x800, v38
	v_add_u32_e32 v6, 0xc00, v38
	ds_read2_b32 v[10:11], v8 offset0:112 offset1:196
	v_add_u32_e32 v8, 0x1000, v38
	ds_read2_b32 v[2:3], v2 offset0:120 offset1:204
	ds_read2_b32 v[4:5], v4 offset0:160 offset1:244
	;; [unrolled: 1-line block ×4, first 2 shown]
	ds_read_b32 v8, v38 offset:5376
	s_waitcnt lgkmcnt(7)
	v_alignbit_b32 v95, v18, v18, 16
.LBB0_5:
	s_or_b64 exec, exec, s[4:5]
	s_waitcnt lgkmcnt(0)
	v_pk_add_f16 v20, v1, v8 neg_lo:[0,1] neg_hi:[0,1]
	s_mov_b32 s27, 0xb5c8
	v_pk_add_f16 v21, v8, v1
	s_movk_i32 s8, 0x3b76
	v_mul_f16_sdwa v24, v20, s27 dst_sel:DWORD dst_unused:UNUSED_PAD src0_sel:WORD_1 src1_sel:DWORD
	s_mov_b32 s28, 0xb964
	v_pk_add_f16 v22, v13, v95 op_sel:[1,0] op_sel_hi:[0,1]
	v_pk_add_f16 v23, v95, v13 op_sel:[1,0] op_sel_hi:[0,1] neg_lo:[0,1] neg_hi:[0,1]
	v_fma_f16 v9, v21, s8, v24
	v_lshrrev_b32_e32 v82, 16, v21
	s_movk_i32 s9, 0x39e9
	v_mul_f16_e32 v26, 0xb964, v20
	s_mov_b32 s29, 0xbb29
	v_lshrrev_b32_e32 v63, 16, v22
	v_mul_f16_sdwa v31, v23, s28 dst_sel:DWORD dst_unused:UNUSED_PAD src0_sel:WORD_1 src1_sel:DWORD
	v_add_f16_e32 v9, v9, v0
	v_fma_f16 v17, v82, s9, -v26
	s_movk_i32 s10, 0x3722
	v_mul_f16_sdwa v33, v20, s29 dst_sel:DWORD dst_unused:UNUSED_PAD src0_sel:WORD_1 src1_sel:DWORD
	s_movk_i32 s11, 0x2de8
	v_fma_f16 v25, v63, s9, v31
	v_mul_f16_e32 v34, 0xbbf7, v23
	s_mov_b32 s16, 0xba62
	v_add_f16_sdwa v17, v17, v0 dst_sel:DWORD dst_unused:UNUSED_PAD src0_sel:DWORD src1_sel:WORD_1
	v_fma_f16 v18, v21, s10, v33
	v_add_f16_e32 v9, v25, v9
	v_fma_f16 v25, v22, s11, -v34
	s_mov_b32 s17, 0xb8d2
	v_mul_f16_sdwa v40, v23, s16 dst_sel:DWORD dst_unused:UNUSED_PAD src0_sel:WORD_1 src1_sel:DWORD
	v_mul_f16_e32 v36, 0xbb29, v20
	v_add_f16_e32 v18, v18, v0
	v_add_f16_e32 v17, v25, v17
	v_fma_f16 v25, v63, s17, v40
	v_add_f16_e32 v18, v25, v18
	v_fma_f16 v25, v82, s10, -v36
	v_mul_f16_e32 v48, 0xba62, v23
	s_mov_b32 s30, 0xbbf7
	v_add_f16_sdwa v25, v25, v0 dst_sel:DWORD dst_unused:UNUSED_PAD src0_sel:DWORD src1_sel:WORD_1
	v_fma_f16 v27, v22, s17, -v48
	v_mul_f16_sdwa v52, v20, s30 dst_sel:DWORD dst_unused:UNUSED_PAD src0_sel:WORD_1 src1_sel:DWORD
	s_mov_b32 s19, 0xb1e1
	v_add_f16_e32 v27, v27, v25
	v_fma_f16 v25, v21, s11, v52
	s_mov_b32 s21, 0xbbdd
	v_mul_f16_sdwa v54, v23, s19 dst_sel:DWORD dst_unused:UNUSED_PAD src0_sel:WORD_1 src1_sel:DWORD
	v_add_f16_e32 v25, v25, v0
	v_fma_f16 v28, v63, s21, v54
	v_mul_f16_e32 v57, 0xbbf7, v20
	v_add_f16_e32 v28, v28, v25
	v_fma_f16 v25, v82, s11, -v57
	v_mul_f16_e32 v58, 0xb1e1, v23
	s_mov_b32 s18, 0xbbb2
	v_add_f16_sdwa v25, v25, v0 dst_sel:DWORD dst_unused:UNUSED_PAD src0_sel:DWORD src1_sel:WORD_1
	v_fma_f16 v29, v22, s21, -v58
	s_mov_b32 s20, 0xb461
	v_mul_f16_sdwa v65, v20, s18 dst_sel:DWORD dst_unused:UNUSED_PAD src0_sel:WORD_1 src1_sel:DWORD
	s_movk_i32 s34, 0x3836
	v_add_f16_e32 v29, v29, v25
	v_fma_f16 v25, v21, s20, v65
	s_mov_b32 s22, 0xbacd
	v_mul_f16_sdwa v67, v23, s34 dst_sel:DWORD dst_unused:UNUSED_PAD src0_sel:WORD_1 src1_sel:DWORD
	v_add_f16_e32 v25, v25, v0
	v_fma_f16 v30, v63, s22, v67
	v_mul_f16_e32 v74, 0xbbb2, v20
	v_add_f16_e32 v32, v30, v25
	v_fma_f16 v25, v82, s20, -v74
	v_mul_f16_e32 v75, 0x3836, v23
	v_add_f16_sdwa v25, v25, v0 dst_sel:DWORD dst_unused:UNUSED_PAD src0_sel:DWORD src1_sel:WORD_1
	v_fma_f16 v30, v22, s22, -v75
	v_add_f16_e32 v35, v30, v25
	v_pk_add_f16 v25, v19, v12 neg_lo:[0,1] neg_hi:[0,1]
	v_pk_add_f16 v30, v12, v19
	v_mul_f16_sdwa v46, v25, s29 dst_sel:DWORD dst_unused:UNUSED_PAD src0_sel:WORD_1 src1_sel:DWORD
	v_fma_f16 v37, v30, s10, v46
	v_lshrrev_b32_e32 v108, 16, v30
	v_mul_f16_e32 v50, 0xba62, v25
	s_movk_i32 s35, 0x31e1
	v_add_f16_e32 v9, v37, v9
	v_fma_f16 v37, v108, s17, -v50
	v_mul_f16_sdwa v55, v25, s35 dst_sel:DWORD dst_unused:UNUSED_PAD src0_sel:WORD_1 src1_sel:DWORD
	v_add_f16_e32 v17, v37, v17
	v_fma_f16 v37, v30, s21, v55
	v_mul_f16_e32 v61, 0x31e1, v25
	s_movk_i32 s31, 0x3bb2
	v_add_f16_e32 v18, v37, v18
	v_fma_f16 v37, v108, s21, -v61
	v_mul_f16_sdwa v66, v25, s31 dst_sel:DWORD dst_unused:UNUSED_PAD src0_sel:WORD_1 src1_sel:DWORD
	v_add_f16_e32 v27, v37, v27
	v_fma_f16 v37, v30, s20, v66
	;; [unrolled: 7-line block ×3, first 2 shown]
	v_mul_f16_e32 v84, 0x3964, v25
	v_add_f16_e32 v37, v37, v32
	v_fma_f16 v32, v108, s9, -v84
	v_add_f16_e32 v41, v32, v35
	v_pk_add_f16 v32, v14, v11 neg_lo:[0,1] neg_hi:[0,1]
	v_pk_add_f16 v35, v11, v14
	v_mul_f16_sdwa v51, v32, s30 dst_sel:DWORD dst_unused:UNUSED_PAD src0_sel:WORD_1 src1_sel:DWORD
	v_fma_f16 v42, v35, s11, v51
	v_lshrrev_b32_e32 v116, 16, v35
	v_mul_f16_e32 v59, 0xb1e1, v32
	v_add_f16_e32 v9, v42, v9
	v_fma_f16 v42, v116, s21, -v59
	v_mul_f16_sdwa v64, v32, s31 dst_sel:DWORD dst_unused:UNUSED_PAD src0_sel:WORD_1 src1_sel:DWORD
	v_add_f16_e32 v17, v42, v17
	v_fma_f16 v42, v35, s20, v64
	v_mul_f16_e32 v71, 0x3bb2, v32
	s_movk_i32 s24, 0x35c8
	v_add_f16_e32 v18, v42, v18
	v_fma_f16 v42, v116, s20, -v71
	v_mul_f16_sdwa v77, v32, s24 dst_sel:DWORD dst_unused:UNUSED_PAD src0_sel:WORD_1 src1_sel:DWORD
	v_add_f16_e32 v27, v42, v27
	v_fma_f16 v42, v35, s8, v77
	v_mul_f16_e32 v83, 0x35c8, v32
	v_add_f16_e32 v28, v42, v28
	v_fma_f16 v42, v116, s8, -v83
	v_mul_f16_sdwa v87, v32, s29 dst_sel:DWORD dst_unused:UNUSED_PAD src0_sel:WORD_1 src1_sel:DWORD
	v_add_f16_e32 v29, v42, v29
	v_fma_f16 v42, v35, s10, v87
	v_mul_f16_e32 v92, 0xbb29, v32
	v_add_f16_e32 v42, v42, v37
	v_fma_f16 v37, v116, s10, -v92
	v_add_f16_e32 v41, v37, v41
	v_pk_add_f16 v37, v15, v10 neg_lo:[0,1] neg_hi:[0,1]
	v_pk_add_f16 v47, v10, v15
	v_mul_f16_sdwa v60, v37, s18 dst_sel:DWORD dst_unused:UNUSED_PAD src0_sel:WORD_1 src1_sel:DWORD
	v_fma_f16 v43, v47, s20, v60
	v_lshrrev_b32_e32 v127, 16, v47
	v_mul_f16_e32 v69, 0x3836, v37
	v_add_f16_e32 v9, v43, v9
	v_fma_f16 v43, v127, s22, -v69
	v_mul_f16_sdwa v76, v37, s23 dst_sel:DWORD dst_unused:UNUSED_PAD src0_sel:WORD_1 src1_sel:DWORD
	v_add_f16_e32 v17, v43, v17
	v_fma_f16 v43, v47, s9, v76
	v_mul_f16_e32 v81, 0x3964, v37
	v_add_f16_e32 v18, v43, v18
	v_fma_f16 v43, v127, s9, -v81
	v_mul_f16_sdwa v86, v37, s29 dst_sel:DWORD dst_unused:UNUSED_PAD src0_sel:WORD_1 src1_sel:DWORD
	v_add_f16_e32 v27, v43, v27
	v_fma_f16 v43, v47, s10, v86
	;; [unrolled: 6-line block ×3, first 2 shown]
	v_mul_f16_e32 v101, 0xb1e1, v37
	v_pk_add_f16 v49, v2, v7 neg_lo:[0,1] neg_hi:[0,1]
	v_add_f16_e32 v42, v43, v42
	v_fma_f16 v43, v127, s21, -v101
	v_pk_add_f16 v53, v7, v2
	v_mul_f16_sdwa v70, v49, s16 dst_sel:DWORD dst_unused:UNUSED_PAD src0_sel:WORD_1 src1_sel:DWORD
	v_add_f16_e32 v41, v43, v41
	v_fma_f16 v43, v53, s17, v70
	v_lshrrev_b32_e32 v130, 16, v53
	v_mul_f16_e32 v79, 0x3bb2, v49
	v_add_f16_e32 v9, v43, v9
	v_fma_f16 v43, v130, s20, -v79
	v_mul_f16_sdwa v85, v49, s27 dst_sel:DWORD dst_unused:UNUSED_PAD src0_sel:WORD_1 src1_sel:DWORD
	v_add_f16_e32 v17, v43, v17
	v_fma_f16 v43, v53, s8, v85
	v_mul_f16_e32 v90, 0xb5c8, v49
	s_mov_b32 s26, 0xb836
	v_add_f16_e32 v18, v43, v18
	v_fma_f16 v43, v130, s8, -v90
	v_mul_f16_sdwa v94, v49, s26 dst_sel:DWORD dst_unused:UNUSED_PAD src0_sel:WORD_1 src1_sel:DWORD
	v_add_f16_e32 v27, v43, v27
	v_fma_f16 v43, v53, s22, v94
	v_mul_f16_e32 v99, 0xb836, v49
	s_movk_i32 s25, 0x3bf7
	v_add_f16_e32 v28, v43, v28
	v_fma_f16 v43, v130, s22, -v99
	v_mul_f16_sdwa v106, v49, s25 dst_sel:DWORD dst_unused:UNUSED_PAD src0_sel:WORD_1 src1_sel:DWORD
	v_add_f16_e32 v29, v43, v29
	v_fma_f16 v43, v53, s11, v106
	v_mul_f16_e32 v112, 0x3bf7, v49
	v_pk_add_f16 v56, v3, v6 neg_lo:[0,1] neg_hi:[0,1]
	v_add_f16_e32 v42, v43, v42
	v_fma_f16 v43, v130, s11, -v112
	v_pk_add_f16 v62, v6, v3
	v_mul_f16_sdwa v80, v56, s26 dst_sel:DWORD dst_unused:UNUSED_PAD src0_sel:WORD_1 src1_sel:DWORD
	v_add_f16_e32 v41, v43, v41
	v_fma_f16 v43, v62, s22, v80
	v_lshrrev_b32_e32 v132, 16, v62
	v_mul_f16_e32 v88, 0x3b29, v56
	v_add_f16_e32 v9, v43, v9
	v_fma_f16 v43, v132, s10, -v88
	v_mul_f16_sdwa v93, v56, s30 dst_sel:DWORD dst_unused:UNUSED_PAD src0_sel:WORD_1 src1_sel:DWORD
	v_add_f16_e32 v43, v43, v17
	v_fma_f16 v17, v62, s11, v93
	v_mul_f16_e32 v97, 0xbbf7, v56
	s_movk_i32 s36, 0x3a62
	v_add_f16_e32 v17, v17, v18
	v_fma_f16 v18, v132, s11, -v97
	v_mul_f16_sdwa v103, v56, s36 dst_sel:DWORD dst_unused:UNUSED_PAD src0_sel:WORD_1 src1_sel:DWORD
	v_add_f16_e32 v27, v18, v27
	v_fma_f16 v18, v62, s17, v103
	v_mul_f16_e32 v111, 0x3a62, v56
	v_add_f16_e32 v28, v18, v28
	v_fma_f16 v18, v132, s17, -v111
	v_mul_f16_sdwa v115, v56, s27 dst_sel:DWORD dst_unused:UNUSED_PAD src0_sel:WORD_1 src1_sel:DWORD
	v_add_f16_e32 v29, v18, v29
	v_fma_f16 v18, v62, s8, v115
	v_mul_f16_e32 v125, 0xb5c8, v56
	v_pk_add_f16 v68, v4, v5 neg_lo:[0,1] neg_hi:[0,1]
	v_add_f16_e32 v135, v18, v42
	v_fma_f16 v18, v132, s8, -v125
	v_pk_add_f16 v72, v5, v4
	v_mul_f16_sdwa v89, v68, s19 dst_sel:DWORD dst_unused:UNUSED_PAD src0_sel:WORD_1 src1_sel:DWORD
	v_add_f16_e32 v41, v18, v41
	v_fma_f16 v18, v72, s21, v89
	s_mov_b32 s4, 0x3b7639e9
	v_add_f16_e32 v42, v18, v9
	s_mov_b32 s5, 0xb964b5c8
	s_mov_b32 s37, 0xbbf7b964
	v_pk_mul_f16 v9, v21, s4
	s_mov_b32 s33, 0x2de839e9
	s_mov_b32 s38, 0x3722b8d2
	v_pk_mul_f16 v45, v23, s37
	v_pk_fma_f16 v117, v20, s5, v9 op_sel:[0,0,1] op_sel_hi:[1,1,0] neg_lo:[1,0,0] neg_hi:[1,0,0]
	s_mov_b32 s39, 0xba62bb29
	s_mov_b32 s40, 0x2de8bbdd
	v_pk_fma_f16 v98, v20, s5, v9 op_sel:[0,0,1] op_sel_hi:[1,1,0]
	v_pk_mul_f16 v119, v30, s38
	v_pk_fma_f16 v118, v22, s33, v45 neg_lo:[0,0,1] neg_hi:[0,0,1]
	v_add_f16_sdwa v9, v117, v0 dst_sel:DWORD dst_unused:UNUSED_PAD src0_sel:DWORD src1_sel:WORD_1
	s_mov_b32 s41, 0xb1e1bbf7
	s_mov_b32 s42, 0xb461bacd
	v_pk_fma_f16 v100, v22, s33, v45
	v_add_f16_sdwa v18, v98, v0 dst_sel:DWORD dst_unused:UNUSED_PAD src0_sel:WORD_1 src1_sel:DWORD
	v_pk_fma_f16 v102, v25, s39, v119 op_sel:[0,0,1] op_sel_hi:[1,1,0]
	v_pk_mul_f16 v120, v35, s40
	v_mul_f16_sdwa v114, v68, s26 dst_sel:DWORD dst_unused:UNUSED_PAD src0_sel:WORD_1 src1_sel:DWORD
	v_pk_fma_f16 v119, v25, s39, v119 op_sel:[0,0,1] op_sel_hi:[1,1,0] neg_lo:[1,0,0] neg_hi:[1,0,0]
	v_add_f16_e32 v9, v118, v9
	s_mov_b32 s43, 0x3836bbb2
	s_mov_b32 s44, 0xb8d2b461
	v_add_f16_sdwa v18, v100, v18 dst_sel:DWORD dst_unused:UNUSED_PAD src0_sel:WORD_1 src1_sel:DWORD
	v_pk_fma_f16 v104, v32, s41, v120 op_sel:[0,0,1] op_sel_hi:[1,1,0]
	v_pk_mul_f16 v121, v47, s42
	v_fma_f16 v44, v72, s22, v114
	v_lshrrev_b32_e32 v134, 16, v72
	v_mul_f16_e32 v113, 0x35c8, v68
	v_pk_fma_f16 v120, v32, s41, v120 op_sel:[0,0,1] op_sel_hi:[1,1,0] neg_lo:[1,0,0] neg_hi:[1,0,0]
	v_add_f16_e32 v9, v119, v9
	s_mov_b32 s45, 0x3bb2ba62
	s_mov_b32 s46, 0xbacd3722
	v_add_f16_sdwa v18, v102, v18 dst_sel:DWORD dst_unused:UNUSED_PAD src0_sel:WORD_1 src1_sel:DWORD
	v_pk_fma_f16 v105, v37, s43, v121 op_sel:[0,0,1] op_sel_hi:[1,1,0]
	v_pk_mul_f16 v122, v53, s44
	v_add_f16_e32 v17, v44, v17
	v_fma_f16 v44, v134, s8, -v113
	v_mul_f16_e32 v126, 0xb836, v68
	v_pk_fma_f16 v121, v37, s43, v121 op_sel:[0,0,1] op_sel_hi:[1,1,0] neg_lo:[1,0,0] neg_hi:[1,0,0]
	v_add_f16_e32 v9, v120, v9
	s_mov_b32 s47, 0x3b29b836
	s_mov_b32 s48, 0xbbdd3b76
	v_add_f16_sdwa v18, v104, v18 dst_sel:DWORD dst_unused:UNUSED_PAD src0_sel:WORD_1 src1_sel:DWORD
	v_pk_fma_f16 v107, v49, s45, v122 op_sel:[0,0,1] op_sel_hi:[1,1,0]
	v_pk_mul_f16 v123, v62, s46
	v_add_f16_e32 v43, v44, v43
	v_fma_f16 v44, v134, s22, -v126
	v_mul_f16_sdwa v128, v68, s23 dst_sel:DWORD dst_unused:UNUSED_PAD src0_sel:WORD_1 src1_sel:DWORD
	v_pk_fma_f16 v122, v49, s45, v122 op_sel:[0,0,1] op_sel_hi:[1,1,0] neg_lo:[1,0,0] neg_hi:[1,0,0]
	v_add_f16_e32 v9, v121, v9
	s_mov_b32 s49, 0x35c8b1e1
	v_add_f16_sdwa v18, v105, v18 dst_sel:DWORD dst_unused:UNUSED_PAD src0_sel:WORD_1 src1_sel:DWORD
	v_pk_fma_f16 v109, v56, s47, v123 op_sel:[0,0,1] op_sel_hi:[1,1,0]
	v_pk_mul_f16 v124, v72, s48
	v_add_f16_e32 v44, v44, v27
	v_fma_f16 v27, v72, s9, v128
	v_mul_f16_e32 v129, 0x3964, v68
	v_pk_fma_f16 v123, v56, s47, v123 op_sel:[0,0,1] op_sel_hi:[1,1,0] neg_lo:[1,0,0] neg_hi:[1,0,0]
	v_add_f16_e32 v9, v122, v9
	v_add_f16_sdwa v18, v107, v18 dst_sel:DWORD dst_unused:UNUSED_PAD src0_sel:WORD_1 src1_sel:DWORD
	v_pk_fma_f16 v110, v68, s49, v124 op_sel:[0,0,1] op_sel_hi:[1,1,0]
	v_add_f16_e32 v27, v27, v28
	v_fma_f16 v28, v134, s9, -v129
	v_mul_f16_e32 v131, 0xba62, v68
	v_pk_fma_f16 v124, v68, s49, v124 op_sel:[0,0,1] op_sel_hi:[1,1,0] neg_lo:[1,0,0] neg_hi:[1,0,0]
	v_add_f16_e32 v9, v123, v9
	v_mul_f16_sdwa v133, v68, s16 dst_sel:DWORD dst_unused:UNUSED_PAD src0_sel:WORD_1 src1_sel:DWORD
	v_add_f16_sdwa v18, v109, v18 dst_sel:DWORD dst_unused:UNUSED_PAD src0_sel:WORD_1 src1_sel:DWORD
	v_add_f16_e32 v28, v28, v29
	v_fma_f16 v29, v134, s17, -v131
	v_add_f16_e32 v45, v124, v9
	v_fma_f16 v9, v72, s17, v133
	v_add_f16_sdwa v18, v110, v18 dst_sel:DWORD dst_unused:UNUSED_PAD src0_sel:WORD_1 src1_sel:DWORD
	v_add_f16_e32 v29, v29, v41
	s_movk_i32 s33, 0x3b29
	v_add_f16_e32 v9, v9, v135
	v_mul_lo_u16_e32 v41, 17, v39
	s_barrier
	s_and_saveexec_b64 s[4:5], s[0:1]
	s_cbranch_execz .LBB0_7
; %bb.6:
	v_mul_f16_e32 v200, 0xb8d2, v82
	v_fma_f16 v201, v20, s36, v200
	v_mul_f16_e32 v202, 0xb461, v22
	v_add_f16_sdwa v201, v201, v0 dst_sel:DWORD dst_unused:UNUSED_PAD src0_sel:DWORD src1_sel:WORD_1
	v_fma_f16 v203, v23, s18, v202
	v_add_f16_e32 v201, v203, v201
	v_mul_f16_e32 v203, 0x3b76, v108
	v_fma_f16 v204, v25, s24, v203
	v_add_f16_e32 v201, v204, v201
	v_mul_f16_e32 v204, 0xbacd, v116
	;; [unrolled: 3-line block ×6, first 2 shown]
	v_fma_f16 v209, v68, s29, v208
	v_add_f16_e32 v201, v209, v201
	v_mul_f16_sdwa v209, v20, s16 dst_sel:DWORD dst_unused:UNUSED_PAD src0_sel:WORD_1 src1_sel:DWORD
	v_fma_f16 v210, v21, s17, v209
	v_mul_f16_sdwa v211, v23, s31 dst_sel:DWORD dst_unused:UNUSED_PAD src0_sel:WORD_1 src1_sel:DWORD
	v_add_f16_e32 v210, v210, v0
	v_fma_f16 v212, v63, s20, v211
	v_add_f16_e32 v210, v212, v210
	v_mul_f16_sdwa v212, v25, s27 dst_sel:DWORD dst_unused:UNUSED_PAD src0_sel:WORD_1 src1_sel:DWORD
	v_fma_f16 v213, v30, s8, v212
	v_add_f16_e32 v210, v213, v210
	v_mul_f16_sdwa v213, v32, s26 dst_sel:DWORD dst_unused:UNUSED_PAD src0_sel:WORD_1 src1_sel:DWORD
	;; [unrolled: 3-line block ×6, first 2 shown]
	v_mul_f16_e32 v137, 0x39e9, v82
	v_mul_f16_e32 v139, 0x3722, v82
	;; [unrolled: 1-line block ×4, first 2 shown]
	v_fma_f16 v218, v72, s10, v217
	v_mul_f16_e32 v82, 0xbacd, v82
	v_add_f16_e32 v210, v218, v210
	v_fma_f16 v218, v20, s34, v82
	v_mul_f16_e32 v219, 0x3722, v22
	v_mul_f16_e32 v153, 0xb8d2, v108
	;; [unrolled: 1-line block ×5, first 2 shown]
	v_add_f16_sdwa v218, v218, v0 dst_sel:DWORD dst_unused:UNUSED_PAD src0_sel:DWORD src1_sel:WORD_1
	v_fma_f16 v220, v23, s29, v219
	v_mul_f16_e32 v108, 0x2de8, v108
	v_mul_f16_e32 v161, 0xbbdd, v116
	v_mul_f16_e32 v163, 0xb461, v116
	v_mul_f16_e32 v165, 0x3b76, v116
	v_mul_f16_e32 v167, 0x3722, v116
	v_add_f16_e32 v218, v220, v218
	v_fma_f16 v220, v25, s25, v108
	v_mul_f16_e32 v116, 0xb8d2, v116
	v_mul_f16_e32 v169, 0xbacd, v127
	v_mul_f16_e32 v171, 0x39e9, v127
	v_mul_f16_e32 v173, 0x3722, v127
	v_mul_f16_e32 v175, 0xbbdd, v127
	v_add_f16_e32 v218, v220, v218
	;; [unrolled: 7-line block ×5, first 2 shown]
	v_fma_f16 v220, v56, s28, v132
	v_mul_f16_e32 v134, 0xb461, v134
	v_add_f16_e32 v218, v220, v218
	v_fma_f16 v220, v68, s31, v134
	v_fma_f16 v82, v20, s26, v82
	v_add_f16_e32 v218, v220, v218
	v_mul_f16_sdwa v220, v20, s26 dst_sel:DWORD dst_unused:UNUSED_PAD src0_sel:WORD_1 src1_sel:DWORD
	v_add_f16_sdwa v82, v82, v0 dst_sel:DWORD dst_unused:UNUSED_PAD src0_sel:DWORD src1_sel:WORD_1
	v_fma_f16 v219, v23, s33, v219
	v_fma_f16 v221, v21, s22, v220
	v_mul_f16_sdwa v222, v23, s33 dst_sel:DWORD dst_unused:UNUSED_PAD src0_sel:WORD_1 src1_sel:DWORD
	v_add_f16_e32 v82, v219, v82
	v_fma_f16 v108, v25, s30, v108
	v_add_f16_e32 v221, v221, v0
	v_fma_f16 v223, v63, s10, v222
	;; [unrolled: 2-line block ×3, first 2 shown]
	v_add_f16_e32 v221, v223, v221
	v_mul_f16_sdwa v223, v25, s30 dst_sel:DWORD dst_unused:UNUSED_PAD src0_sel:WORD_1 src1_sel:DWORD
	v_add_f16_e32 v82, v108, v82
	v_fma_f16 v108, v37, s27, v127
	v_fma_f16 v224, v30, s11, v223
	v_add_f16_e32 v82, v108, v82
	v_fma_f16 v108, v49, s19, v130
	v_add_f16_e32 v221, v224, v221
	v_mul_f16_sdwa v224, v32, s36 dst_sel:DWORD dst_unused:UNUSED_PAD src0_sel:WORD_1 src1_sel:DWORD
	v_add_f16_e32 v82, v108, v82
	v_fma_f16 v108, v56, s23, v132
	v_fma_f16 v225, v35, s17, v224
	v_add_f16_e32 v82, v108, v82
	v_fma_f16 v108, v68, s18, v134
	v_add_f16_e32 v221, v225, v221
	v_mul_f16_sdwa v225, v37, s27 dst_sel:DWORD dst_unused:UNUSED_PAD src0_sel:WORD_1 src1_sel:DWORD
	v_add_f16_e32 v82, v108, v82
	v_fma_f16 v108, v21, s22, -v220
	v_fma_f16 v226, v47, s8, v225
	v_add_f16_e32 v108, v108, v0
	v_fma_f16 v116, v63, s10, -v222
	v_add_f16_e32 v221, v226, v221
	v_mul_f16_sdwa v226, v49, s19 dst_sel:DWORD dst_unused:UNUSED_PAD src0_sel:WORD_1 src1_sel:DWORD
	v_add_f16_e32 v108, v116, v108
	v_fma_f16 v116, v30, s11, -v223
	v_fma_f16 v227, v53, s21, v226
	v_add_f16_e32 v108, v116, v108
	v_fma_f16 v116, v35, s17, -v224
	;; [unrolled: 7-line block ×3, first 2 shown]
	v_add_f16_e32 v221, v228, v221
	v_mul_f16_sdwa v228, v68, s18 dst_sel:DWORD dst_unused:UNUSED_PAD src0_sel:WORD_1 src1_sel:DWORD
	v_add_f16_e32 v108, v116, v108
	v_fma_f16 v116, v62, s9, -v227
	v_add_f16_e32 v108, v116, v108
	v_fma_f16 v116, v72, s20, -v228
	v_mul_f16_e32 v138, 0x3722, v21
	v_mul_f16_e32 v145, 0x2de8, v22
	v_add_f16_e32 v108, v116, v108
	v_fma_f16 v116, v20, s16, v200
	v_add_f16_e32 v26, v26, v137
	v_mul_f16_e32 v146, 0xb8d2, v63
	v_add_f16_sdwa v116, v116, v0 dst_sel:DWORD dst_unused:UNUSED_PAD src0_sel:DWORD src1_sel:WORD_1
	v_fma_f16 v127, v23, s31, v202
	v_sub_f16_e32 v33, v138, v33
	v_add_f16_sdwa v26, v26, v0 dst_sel:DWORD dst_unused:UNUSED_PAD src0_sel:DWORD src1_sel:WORD_1
	v_add_f16_e32 v34, v34, v145
	v_mul_f16_e32 v147, 0xb8d2, v22
	v_mul_f16_e32 v154, 0xbbdd, v30
	v_add_f16_e32 v116, v127, v116
	v_fma_f16 v127, v25, s27, v203
	v_add_f16_e32 v36, v36, v139
	v_add_f16_e32 v33, v33, v0
	v_sub_f16_e32 v40, v146, v40
	v_add_f16_e32 v26, v34, v26
	v_add_f16_e32 v34, v50, v153
	v_alignbit_b32 v135, v0, v0, 16
	v_mul_f16_e32 v140, 0x2de8, v21
	v_mul_f16_e32 v162, 0xb461, v35
	v_add_f16_e32 v116, v127, v116
	v_fma_f16 v127, v32, s26, v204
	v_add_f16_sdwa v36, v36, v0 dst_sel:DWORD dst_unused:UNUSED_PAD src0_sel:DWORD src1_sel:WORD_1
	v_add_f16_e32 v48, v48, v147
	v_add_f16_e32 v33, v40, v33
	v_sub_f16_e32 v40, v154, v55
	v_add_f16_e32 v26, v34, v26
	v_add_f16_e32 v34, v59, v161
	v_alignbit_b32 v95, v95, v95, 16
	v_mul_f16_e32 v148, 0xbbdd, v63
	v_mul_f16_e32 v170, 0x39e9, v47
	v_add_f16_e32 v116, v127, v116
	v_fma_f16 v127, v37, s25, v205
	v_sub_f16_e32 v52, v140, v52
	v_add_f16_e32 v36, v48, v36
	v_add_f16_e32 v48, v61, v155
	;; [unrolled: 1-line block ×3, first 2 shown]
	v_sub_f16_e32 v40, v162, v64
	v_add_f16_e32 v26, v34, v26
	v_add_f16_e32 v34, v69, v169
	v_pk_add_f16 v1, v1, v135 op_sel:[0,1] op_sel_hi:[1,0]
	v_mul_f16_e32 v156, 0xb461, v30
	v_mul_f16_e32 v178, 0x3b76, v53
	v_add_f16_e32 v116, v127, v116
	v_fma_f16 v127, v49, s28, v206
	v_add_f16_e32 v52, v52, v0
	v_sub_f16_e32 v54, v148, v54
	v_add_f16_e32 v36, v48, v36
	v_add_f16_e32 v48, v71, v163
	;; [unrolled: 1-line block ×3, first 2 shown]
	v_sub_f16_e32 v40, v170, v76
	v_add_f16_e32 v26, v34, v26
	v_add_f16_e32 v34, v79, v177
	v_pk_add_f16 v1, v95, v1
	v_mul_f16_e32 v149, 0xbbdd, v22
	v_mul_f16_e32 v164, 0x3b76, v35
	v_mul_f16_e32 v186, 0x2de8, v62
	v_add_f16_e32 v116, v127, v116
	v_fma_f16 v127, v56, s19, v207
	v_add_f16_e32 v57, v57, v141
	v_add_f16_e32 v52, v54, v52
	v_sub_f16_e32 v54, v156, v66
	v_add_f16_e32 v36, v48, v36
	v_add_f16_e32 v48, v81, v171
	;; [unrolled: 1-line block ×3, first 2 shown]
	v_sub_f16_e32 v40, v178, v85
	v_add_f16_e32 v26, v34, v26
	v_add_f16_e32 v34, v88, v185
	v_pk_add_f16 v1, v19, v1
	v_mul_f16_e32 v136, 0x3b76, v21
	v_mul_f16_e32 v142, 0xb461, v21
	;; [unrolled: 1-line block ×4, first 2 shown]
	v_add_f16_e32 v116, v127, v116
	v_fma_f16 v127, v68, s33, v208
	v_add_f16_sdwa v57, v57, v0 dst_sel:DWORD dst_unused:UNUSED_PAD src0_sel:DWORD src1_sel:WORD_1
	v_add_f16_e32 v58, v58, v149
	v_add_f16_e32 v52, v54, v52
	v_sub_f16_e32 v54, v164, v77
	v_add_f16_e32 v36, v48, v36
	v_add_f16_e32 v48, v90, v179
	;; [unrolled: 1-line block ×3, first 2 shown]
	v_sub_f16_e32 v40, v186, v93
	v_add_f16_e32 v26, v34, v26
	v_add_f16_e32 v34, v113, v193
	s_mov_b32 s27, 0xffff
	v_pk_add_f16 v1, v14, v1
	v_mul_f16_e32 v144, 0x39e9, v63
	v_mul_f16_e32 v180, 0xbacd, v53
	v_add_f16_e32 v116, v127, v116
	v_fma_f16 v127, v21, s17, -v209
	v_add_f16_e32 v74, v74, v143
	v_sub_f16_e32 v65, v142, v65
	v_add_f16_e32 v57, v58, v57
	v_add_f16_e32 v58, v73, v157
	v_add_f16_e32 v52, v54, v52
	v_sub_f16_e32 v54, v172, v86
	v_add_f16_e32 v36, v48, v36
	v_add_f16_e32 v48, v97, v187
	;; [unrolled: 1-line block ×3, first 2 shown]
	v_sub_f16_e32 v40, v194, v114
	v_add_f16_e32 v26, v34, v26
	v_bfi_b32 v34, s27, v98, v117
	v_sub_f16_e32 v24, v136, v24
	v_pk_add_f16 v1, v15, v1
	v_mul_f16_e32 v152, 0x3722, v30
	v_mul_f16_e32 v188, 0xb8d2, v62
	v_add_f16_e32 v127, v127, v0
	v_add_f16_sdwa v74, v74, v0 dst_sel:DWORD dst_unused:UNUSED_PAD src0_sel:DWORD src1_sel:WORD_1
	v_add_f16_e32 v65, v65, v0
	v_add_f16_e32 v57, v58, v57
	;; [unrolled: 1-line block ×4, first 2 shown]
	v_sub_f16_e32 v54, v180, v94
	v_add_f16_e32 v36, v48, v36
	v_add_f16_e32 v48, v126, v195
	;; [unrolled: 1-line block ×3, first 2 shown]
	v_bfi_b32 v40, s27, v100, v118
	v_add_f16_e32 v0, v24, v0
	v_sub_f16_e32 v24, v144, v31
	v_pk_add_f16 v1, v2, v1
	v_pk_add_f16 v2, v34, v135
	v_mul_f16_e32 v150, 0xbacd, v63
	v_mul_f16_e32 v151, 0xbacd, v22
	;; [unrolled: 1-line block ×4, first 2 shown]
	v_add_f16_e32 v57, v58, v57
	v_add_f16_e32 v58, v91, v173
	;; [unrolled: 1-line block ×3, first 2 shown]
	v_sub_f16_e32 v54, v188, v103
	v_add_f16_e32 v36, v48, v36
	v_bfi_b32 v48, s27, v102, v119
	v_add_f16_e32 v0, v24, v0
	v_sub_f16_e32 v24, v152, v46
	v_pk_add_f16 v2, v40, v2
	v_mul_f16_e32 v158, 0x39e9, v30
	v_mul_f16_e32 v168, 0xb461, v47
	v_fma_f16 v63, v63, s20, -v211
	v_add_f16_e32 v75, v75, v151
	v_sub_f16_e32 v67, v150, v67
	v_add_f16_e32 v57, v58, v57
	v_add_f16_e32 v58, v99, v181
	;; [unrolled: 1-line block ×3, first 2 shown]
	v_sub_f16_e32 v54, v196, v128
	v_bfi_b32 v50, s27, v104, v120
	v_add_f16_e32 v0, v24, v0
	v_sub_f16_e32 v24, v160, v51
	v_pk_add_f16 v1, v3, v1
	v_pk_add_f16 v2, v48, v2
	v_mul_f16_e32 v166, 0x3722, v35
	v_mul_f16_e32 v176, 0xb8d2, v53
	v_add_f16_e32 v63, v63, v127
	v_fma_f16 v127, v30, s8, -v212
	v_add_f16_e32 v74, v75, v74
	v_add_f16_e32 v75, v84, v159
	;; [unrolled: 1-line block ×3, first 2 shown]
	v_sub_f16_e32 v67, v158, v78
	v_add_f16_e32 v57, v58, v57
	v_add_f16_e32 v58, v111, v189
	;; [unrolled: 1-line block ×3, first 2 shown]
	v_bfi_b32 v54, s27, v105, v121
	v_add_f16_e32 v0, v24, v0
	v_sub_f16_e32 v24, v168, v60
	v_pk_add_f16 v1, v4, v1
	v_pk_add_f16 v2, v50, v2
	v_mul_f16_e32 v174, 0xbbdd, v47
	v_mul_f16_e32 v184, 0xbacd, v62
	v_add_f16_e32 v63, v127, v63
	v_fma_f16 v127, v35, s22, -v213
	v_add_f16_e32 v74, v75, v74
	v_add_f16_e32 v75, v92, v167
	;; [unrolled: 1-line block ×3, first 2 shown]
	v_sub_f16_e32 v67, v166, v87
	v_add_f16_e32 v57, v58, v57
	v_add_f16_e32 v58, v129, v197
	v_bfi_b32 v55, s27, v107, v122
	v_add_f16_e32 v0, v24, v0
	v_sub_f16_e32 v24, v176, v70
	v_pk_add_f16 v1, v5, v1
	v_pk_add_f16 v2, v54, v2
	v_mul_f16_e32 v182, 0x2de8, v53
	v_mul_f16_e32 v192, 0xbbdd, v72
	v_add_f16_e32 v63, v127, v63
	v_fma_f16 v127, v47, s11, -v214
	v_add_f16_e32 v74, v75, v74
	v_add_f16_e32 v75, v101, v175
	;; [unrolled: 1-line block ×3, first 2 shown]
	v_sub_f16_e32 v67, v174, v96
	v_add_f16_e32 v57, v58, v57
	v_bfi_b32 v58, s27, v109, v123
	v_add_f16_e32 v0, v24, v0
	v_sub_f16_e32 v24, v184, v80
	v_pk_add_f16 v1, v6, v1
	v_pk_add_f16 v2, v55, v2
	v_mul_f16_e32 v190, 0x3b76, v62
	v_add_f16_e32 v63, v127, v63
	v_fma_f16 v127, v53, s9, -v215
	v_add_f16_e32 v74, v75, v74
	v_add_f16_e32 v75, v112, v183
	;; [unrolled: 1-line block ×3, first 2 shown]
	v_sub_f16_e32 v67, v182, v106
	v_bfi_b32 v59, s27, v110, v124
	v_add_f16_e32 v0, v24, v0
	v_sub_f16_e32 v24, v192, v89
	v_pk_add_f16 v1, v7, v1
	v_pk_add_f16 v2, v58, v2
	v_mul_f16_e32 v198, 0xb8d2, v72
	v_add_f16_e32 v63, v127, v63
	v_fma_f16 v127, v62, s21, -v216
	v_add_f16_e32 v74, v75, v74
	v_add_f16_e32 v75, v125, v191
	;; [unrolled: 1-line block ×3, first 2 shown]
	v_sub_f16_e32 v67, v190, v115
	v_add_f16_e32 v0, v24, v0
	v_pk_add_f16 v1, v10, v1
	v_pk_add_f16 v2, v59, v2
	v_add_f16_e32 v63, v127, v63
	v_fma_f16 v127, v72, s10, -v217
	v_add_f16_e32 v74, v75, v74
	v_add_f16_e32 v75, v131, v199
	;; [unrolled: 1-line block ×3, first 2 shown]
	v_sub_f16_e32 v67, v198, v133
	v_lshlrev_b32_e32 v14, 2, v41
	v_pk_add_f16 v1, v11, v1
	v_alignbit_b32 v3, v26, v2, 16
	v_pack_b32_f16 v0, v0, v2
	v_add_f16_e32 v63, v127, v63
	v_add_f16_e32 v74, v75, v74
	;; [unrolled: 1-line block ×3, first 2 shown]
	v_pk_add_f16 v1, v12, v1
	ds_write2_b32 v14, v0, v3 offset0:1 offset1:2
	v_pack_b32_f16 v0, v52, v57
	v_pack_b32_f16 v2, v33, v36
	v_pk_add_f16 v1, v13, v1
	ds_write2_b32 v14, v2, v0 offset0:3 offset1:4
	v_pack_b32_f16 v0, v65, v74
	v_pack_b32_f16 v2, v63, v116
	v_pk_add_f16 v1, v8, v1
	ds_write2_b32 v14, v0, v2 offset0:5 offset1:6
	v_pack_b32_f16 v0, v108, v82
	ds_write2_b32 v14, v1, v0 offset1:7
	v_pk_mul_f16 v0, v21, s21 op_sel_hi:[1,0]
	v_pk_fma_f16 v1, v20, s19, v0 op_sel:[0,0,1] op_sel_hi:[1,0,0] neg_lo:[1,0,0] neg_hi:[1,0,0]
	v_pk_mul_f16 v2, v23, s24 op_sel_hi:[1,0]
	v_pk_add_f16 v1, v1, v135
	v_pk_fma_f16 v3, v22, s8, v2 op_sel_hi:[1,0,1] neg_lo:[0,0,1] neg_hi:[0,0,1]
	v_pk_add_f16 v1, v3, v1
	v_pk_mul_f16 v3, v30, s22 op_sel_hi:[1,0]
	v_pk_fma_f16 v4, v25, s26, v3 op_sel:[0,0,1] op_sel_hi:[1,0,0] neg_lo:[1,0,0] neg_hi:[1,0,0]
	v_pk_add_f16 v1, v4, v1
	v_pk_mul_f16 v4, v35, s9 op_sel_hi:[1,0]
	v_pk_fma_f16 v5, v32, s23, v4 op_sel:[0,0,1] op_sel_hi:[1,0,0] neg_lo:[1,0,0] neg_hi:[1,0,0]
	v_pk_add_f16 v1, v5, v1
	v_pk_mul_f16 v5, v47, s17 op_sel_hi:[1,0]
	v_pk_fma_f16 v0, v20, s19, v0 op_sel:[0,0,1] op_sel_hi:[1,0,0]
	v_pk_fma_f16 v6, v37, s16, v5 op_sel:[0,0,1] op_sel_hi:[1,0,0] neg_lo:[1,0,0] neg_hi:[1,0,0]
	v_pk_add_f16 v0, v0, v135
	v_pk_fma_f16 v2, v22, s8, v2 op_sel_hi:[1,0,1]
	v_pk_add_f16 v1, v6, v1
	v_pk_mul_f16 v6, v53, s10 op_sel_hi:[1,0]
	v_pk_add_f16 v0, v2, v0
	v_pk_fma_f16 v2, v25, s26, v3 op_sel:[0,0,1] op_sel_hi:[1,0,0]
	v_pk_fma_f16 v7, v49, s33, v6 op_sel:[0,0,1] op_sel_hi:[1,0,0] neg_lo:[1,0,0] neg_hi:[1,0,0]
	v_pk_add_f16 v0, v2, v0
	v_pk_fma_f16 v2, v32, s23, v4 op_sel:[0,0,1] op_sel_hi:[1,0,0]
	v_pk_add_f16 v1, v7, v1
	v_pk_mul_f16 v7, v62, s20 op_sel_hi:[1,0]
	v_pk_add_f16 v0, v2, v0
	v_pk_fma_f16 v2, v37, s16, v5 op_sel:[0,0,1] op_sel_hi:[1,0,0]
	v_pk_fma_f16 v8, v56, s18, v7 op_sel:[0,0,1] op_sel_hi:[1,0,0] neg_lo:[1,0,0] neg_hi:[1,0,0]
	v_pk_add_f16 v0, v2, v0
	v_pk_fma_f16 v2, v49, s33, v6 op_sel:[0,0,1] op_sel_hi:[1,0,0]
	;; [unrolled: 7-line block ×3, first 2 shown]
	v_fma_f16 v229, v72, s20, v228
	v_pk_add_f16 v1, v10, v1
	v_pk_add_f16 v0, v2, v0
	v_add_f16_e32 v221, v229, v221
	v_alignbit_b32 v2, v1, v0, 16
	v_alignbit_b32 v0, v0, v1, 16
	ds_write2_b32 v14, v0, v2 offset0:8 offset1:9
	v_pack_b32_f16 v0, v210, v201
	v_pack_b32_f16 v1, v221, v218
	s_mov_b32 s8, 0x5040100
	ds_write2_b32 v14, v1, v0 offset0:10 offset1:11
	v_perm_b32 v0, v28, v27, s8
	v_perm_b32 v1, v29, v9, s8
	ds_write2_b32 v14, v1, v0 offset0:12 offset1:13
	v_perm_b32 v0, v43, v18, s8
	v_perm_b32 v1, v44, v17, s8
	ds_write2_b32 v14, v1, v0 offset0:14 offset1:15
	v_perm_b32 v0, v45, v42, s8
	ds_write_b32 v14, v0 offset:64
.LBB0_7:
	s_or_b64 exec, exec, s[4:5]
	s_movk_i32 s16, 0xf1
	v_mul_lo_u16_sdwa v0, v39, s16 dst_sel:DWORD dst_unused:UNUSED_PAD src0_sel:BYTE_0 src1_sel:DWORD
	s_load_dwordx4 s[8:11], s[2:3], 0x0
	s_movk_i32 s2, 0xee
	v_lshrrev_b16_e32 v19, 12, v0
	v_add_co_u32_e32 v1, vcc, s2, v39
	s_movk_i32 s2, 0x165
	v_mul_lo_u16_e32 v0, 17, v19
	v_add_co_u32_e32 v2, vcc, s2, v39
	s_movk_i32 s2, 0x1dc
	v_sub_u16_e32 v0, v39, v0
	v_add_co_u32_e32 v3, vcc, s2, v39
	s_movk_i32 s2, 0x253
	v_and_b32_e32 v20, 0xff, v0
	v_add_co_u32_e32 v4, vcc, s2, v39
	v_lshlrev_b32_e32 v5, 2, v20
	s_mov_b32 s2, 0xf0f1
	s_waitcnt lgkmcnt(0)
	s_barrier
	v_mul_u32_u24_sdwa v7, v1, s2 dst_sel:DWORD dst_unused:UNUSED_PAD src0_sel:WORD_0 src1_sel:DWORD
	global_load_dword v48, v5, s[14:15]
	v_mul_u32_u24_sdwa v5, v2, s2 dst_sel:DWORD dst_unused:UNUSED_PAD src0_sel:WORD_0 src1_sel:DWORD
	v_add_u16_e32 v30, 0x77, v39
	v_lshrrev_b32_e32 v23, 20, v7
	v_lshrrev_b32_e32 v25, 20, v5
	v_mul_lo_u16_sdwa v0, v30, s16 dst_sel:DWORD dst_unused:UNUSED_PAD src0_sel:BYTE_0 src1_sel:DWORD
	v_mul_lo_u16_e32 v7, 17, v23
	v_mul_lo_u16_e32 v5, 17, v25
	v_lshrrev_b16_e32 v21, 12, v0
	v_sub_u16_e32 v24, v1, v7
	v_sub_u16_e32 v26, v2, v5
	v_mul_u32_u24_sdwa v5, v3, s2 dst_sel:DWORD dst_unused:UNUSED_PAD src0_sel:WORD_0 src1_sel:DWORD
	v_mul_lo_u16_e32 v6, 17, v21
	v_lshlrev_b32_e32 v1, 2, v24
	v_lshlrev_b32_e32 v2, 2, v26
	v_lshrrev_b32_e32 v36, 20, v5
	v_sub_u16_e32 v6, v30, v6
	global_load_dword v50, v1, s[14:15]
	global_load_dword v51, v2, s[14:15]
	v_mul_lo_u16_e32 v1, 17, v36
	v_and_b32_e32 v22, 0xff, v6
	v_sub_u16_e32 v37, v3, v1
	v_mul_u32_u24_sdwa v2, v4, s2 dst_sel:DWORD dst_unused:UNUSED_PAD src0_sel:WORD_0 src1_sel:DWORD
	v_lshlrev_b32_e32 v6, 2, v22
	v_lshlrev_b32_e32 v1, 2, v37
	v_lshrrev_b32_e32 v46, 20, v2
	global_load_dword v49, v6, s[14:15]
	global_load_dword v52, v1, s[14:15]
	v_mul_lo_u16_e32 v1, 17, v46
	v_sub_u16_e32 v47, v4, v1
	v_lshlrev_b32_e32 v1, 2, v47
	global_load_dword v53, v1, s[14:15]
	v_mov_b32_e32 v1, 2
	v_lshlrev_b32_sdwa v40, v1, v39 dst_sel:DWORD dst_unused:UNUSED_PAD src0_sel:DWORD src1_sel:WORD_0
	v_add_u32_e32 v4, 0xa00, v40
	v_add_u32_e32 v6, 0x200, v40
	ds_read2_b32 v[2:3], v40 offset1:119
	v_add_u32_e32 v1, 0xe00, v40
	v_add_u32_e32 v60, 0x600, v40
	;; [unrolled: 1-line block ×3, first 2 shown]
	ds_read2_b32 v[4:5], v4 offset0:74 offset1:193
	ds_read2_b32 v[6:7], v6 offset0:110 offset1:229
	;; [unrolled: 1-line block ×5, first 2 shown]
	s_waitcnt lgkmcnt(4)
	v_lshrrev_b32_e32 v32, 16, v4
	v_lshrrev_b32_e32 v33, 16, v5
	s_waitcnt lgkmcnt(2)
	v_lshrrev_b32_e32 v35, 16, v10
	v_lshrrev_b32_e32 v55, 16, v11
	;; [unrolled: 3-line block ×3, first 2 shown]
	v_lshrrev_b32_e32 v31, 16, v3
	v_lshrrev_b32_e32 v8, 16, v2
	;; [unrolled: 1-line block ×5, first 2 shown]
	s_waitcnt vmcnt(0)
	s_barrier
	v_lshrrev_b32_e32 v58, 16, v13
	s_movk_i32 s2, 0x55
	v_cmp_gt_u16_e64 s[2:3], s2, v39
	v_mul_f16_sdwa v61, v32, v48 dst_sel:DWORD dst_unused:UNUSED_PAD src0_sel:DWORD src1_sel:WORD_1
	v_mul_f16_sdwa v62, v4, v48 dst_sel:DWORD dst_unused:UNUSED_PAD src0_sel:DWORD src1_sel:WORD_1
	v_fma_f16 v4, v4, v48, -v61
	v_fma_f16 v32, v32, v48, v62
	v_sub_f16_e32 v4, v2, v4
	v_fma_f16 v2, v2, 2.0, -v4
	v_mul_f16_sdwa v61, v35, v50 dst_sel:DWORD dst_unused:UNUSED_PAD src0_sel:DWORD src1_sel:WORD_1
	v_fma_f16 v61, v10, v50, -v61
	v_mul_f16_sdwa v10, v10, v50 dst_sel:DWORD dst_unused:UNUSED_PAD src0_sel:DWORD src1_sel:WORD_1
	v_fma_f16 v10, v35, v50, v10
	v_mul_f16_sdwa v35, v55, v51 dst_sel:DWORD dst_unused:UNUSED_PAD src0_sel:DWORD src1_sel:WORD_1
	v_fma_f16 v35, v11, v51, -v35
	v_mul_f16_sdwa v11, v11, v51 dst_sel:DWORD dst_unused:UNUSED_PAD src0_sel:DWORD src1_sel:WORD_1
	v_fma_f16 v11, v55, v51, v11
	v_sub_f16_e32 v61, v6, v61
	v_mul_f16_sdwa v64, v5, v49 dst_sel:DWORD dst_unused:UNUSED_PAD src0_sel:DWORD src1_sel:WORD_1
	v_mul_f16_sdwa v55, v57, v52 dst_sel:DWORD dst_unused:UNUSED_PAD src0_sel:DWORD src1_sel:WORD_1
	v_fma_f16 v55, v14, v52, -v55
	v_mul_f16_sdwa v14, v14, v52 dst_sel:DWORD dst_unused:UNUSED_PAD src0_sel:DWORD src1_sel:WORD_1
	v_fma_f16 v57, v57, v52, v14
	v_mul_f16_sdwa v14, v59, v53 dst_sel:DWORD dst_unused:UNUSED_PAD src0_sel:DWORD src1_sel:WORD_1
	v_mul_f16_sdwa v63, v33, v49 dst_sel:DWORD dst_unused:UNUSED_PAD src0_sel:DWORD src1_sel:WORD_1
	v_fma_f16 v33, v33, v49, v64
	v_fma_f16 v62, v15, v53, -v14
	v_mul_f16_sdwa v14, v15, v53 dst_sel:DWORD dst_unused:UNUSED_PAD src0_sel:DWORD src1_sel:WORD_1
	v_fma_f16 v15, v59, v53, v14
	v_sub_f16_e32 v64, v31, v33
	v_sub_f16_e32 v14, v12, v55
	;; [unrolled: 1-line block ×3, first 2 shown]
	v_fma_f16 v65, v31, 2.0, -v64
	v_sub_f16_e32 v31, v54, v11
	v_fma_f16 v11, v12, 2.0, -v14
	v_mul_lo_u16_e32 v12, 34, v19
	v_fma_f16 v5, v5, v49, -v63
	v_fma_f16 v63, v8, 2.0, -v59
	v_and_b32_e32 v12, 0xfe, v12
	v_sub_f16_e32 v5, v3, v5
	v_fma_f16 v68, v54, 2.0, -v31
	v_add_lshl_u32 v54, v12, v20, 2
	v_pack_b32_f16 v2, v2, v63
	v_pack_b32_f16 v4, v4, v59
	v_fma_f16 v3, v3, 2.0, -v5
	ds_write2_b32 v54, v2, v4 offset1:17
	v_mul_u32_u24_e32 v2, 34, v21
	v_sub_f16_e32 v66, v34, v10
	v_add_lshl_u32 v55, v2, v22, 2
	v_pack_b32_f16 v2, v3, v65
	v_pack_b32_f16 v3, v5, v64
	v_fma_f16 v6, v6, 2.0, -v61
	v_fma_f16 v67, v34, 2.0, -v66
	v_sub_f16_e32 v33, v56, v57
	ds_write2_b32 v55, v2, v3 offset1:17
	v_mad_legacy_u16 v2, v23, 34, v24
	v_sub_f16_e32 v10, v7, v35
	v_fma_f16 v32, v56, 2.0, -v33
	v_lshlrev_b32_e32 v56, 2, v2
	v_pack_b32_f16 v2, v6, v67
	v_pack_b32_f16 v3, v61, v66
	v_fma_f16 v7, v7, 2.0, -v10
	ds_write2_b32 v56, v2, v3 offset1:17
	v_mad_legacy_u16 v2, v25, 34, v26
	v_lshlrev_b32_e32 v57, 2, v2
	v_pack_b32_f16 v2, v7, v68
	v_pack_b32_f16 v3, v10, v31
	v_sub_f16_e32 v34, v58, v15
	ds_write2_b32 v57, v2, v3 offset1:17
	v_mad_legacy_u16 v2, v36, 34, v37
	v_sub_f16_e32 v8, v13, v62
	v_fma_f16 v35, v58, 2.0, -v34
	v_lshlrev_b32_e32 v58, 2, v2
	v_pack_b32_f16 v2, v11, v32
	v_pack_b32_f16 v3, v14, v33
	v_fma_f16 v15, v13, 2.0, -v8
	ds_write2_b32 v58, v2, v3 offset1:17
	v_mad_legacy_u16 v2, v46, 34, v47
	v_lshlrev_b32_e32 v59, 2, v2
	v_pack_b32_f16 v2, v15, v35
	v_pack_b32_f16 v3, v8, v34
	ds_write2_b32 v59, v2, v3 offset1:17
	v_add_u32_e32 v2, 0xc00, v40
	s_waitcnt lgkmcnt(0)
	s_barrier
	ds_read2_b32 v[12:13], v40 offset1:204
	ds_read2_b32 v[23:24], v60 offset0:24 offset1:228
	ds_read2_b32 v[25:26], v2 offset0:48 offset1:252
	ds_read_b32 v36, v40 offset:4896
	s_and_saveexec_b64 s[4:5], s[2:3]
	s_cbranch_execz .LBB0_9
; %bb.8:
	v_add_u32_e32 v2, 0x180, v40
	ds_read2_b32 v[10:11], v2 offset0:23 offset1:227
	v_add_u32_e32 v2, 0x800, v40
	ds_read2_b32 v[14:15], v2 offset0:15 offset1:219
	ds_read2_b32 v[8:9], v1 offset0:39 offset1:243
	ds_read_b32 v27, v40 offset:5372
	s_waitcnt lgkmcnt(3)
	v_lshrrev_b32_e32 v31, 16, v10
	v_lshrrev_b32_e32 v32, 16, v11
	s_waitcnt lgkmcnt(2)
	v_lshrrev_b32_e32 v33, 16, v14
	v_lshrrev_b32_e32 v35, 16, v15
	;; [unrolled: 3-line block ×3, first 2 shown]
	s_waitcnt lgkmcnt(0)
	v_lshrrev_b32_e32 v28, 16, v27
.LBB0_9:
	s_or_b64 exec, exec, s[4:5]
	v_lshrrev_b16_e32 v46, 13, v0
	v_mul_lo_u16_sdwa v4, v39, s16 dst_sel:DWORD dst_unused:UNUSED_PAD src0_sel:BYTE_0 src1_sel:DWORD
	v_mul_lo_u16_e32 v0, 34, v46
	v_lshrrev_b16_e32 v65, 13, v4
	v_sub_u16_e32 v0, v30, v0
	v_mul_lo_u16_e32 v4, 34, v65
	v_and_b32_e32 v47, 0xff, v0
	v_sub_u16_e32 v4, v39, v4
	v_mad_u64_u32 v[60:61], s[4:5], v47, 24, s[14:15]
	v_and_b32_e32 v66, 0xff, v4
	v_mad_u64_u32 v[62:63], s[4:5], v66, 24, s[14:15]
	global_load_dwordx4 v[0:3], v[60:61], off offset:68
	global_load_dwordx2 v[19:20], v[60:61], off offset:84
	global_load_dwordx4 v[4:7], v[62:63], off offset:68
	global_load_dwordx2 v[21:22], v[62:63], off offset:84
	s_waitcnt lgkmcnt(3)
	v_lshrrev_b32_e32 v37, 16, v13
	s_waitcnt lgkmcnt(2)
	v_lshrrev_b32_e32 v60, 16, v23
	;; [unrolled: 2-line block ×4, first 2 shown]
	v_lshrrev_b32_e32 v61, 16, v24
	v_lshrrev_b32_e32 v62, 16, v25
	s_movk_i32 s5, 0x3b00
	s_movk_i32 s17, 0x39e0
	;; [unrolled: 1-line block ×3, first 2 shown]
	s_mov_b32 s16, 0xbcab
	s_movk_i32 s18, 0x3574
	s_movk_i32 s19, 0x370e
	s_waitcnt vmcnt(0)
	s_barrier
	v_mul_f16_sdwa v75, v29, v19 dst_sel:DWORD dst_unused:UNUSED_PAD src0_sel:DWORD src1_sel:WORD_1
	v_mul_f16_sdwa v79, v37, v4 dst_sel:DWORD dst_unused:UNUSED_PAD src0_sel:DWORD src1_sel:WORD_1
	;; [unrolled: 1-line block ×15, first 2 shown]
	v_fma_f16 v13, v13, v4, -v79
	v_fma_f16 v37, v37, v4, v80
	v_fma_f16 v23, v23, v5, -v81
	v_fma_f16 v60, v60, v5, v82
	v_fma_f16 v26, v26, v21, -v87
	v_fma_f16 v63, v63, v21, v88
	v_fma_f16 v36, v36, v22, -v89
	v_fma_f16 v64, v64, v22, v90
	v_fma_f16 v11, v11, v0, -v67
	v_fma_f16 v32, v32, v0, v68
	v_fma_f16 v24, v24, v6, -v83
	v_fma_f16 v61, v61, v6, v84
	v_fma_f16 v25, v25, v7, -v85
	v_fma_f16 v62, v62, v7, v86
	v_add_f16_e32 v67, v13, v36
	v_add_f16_e32 v68, v37, v64
	v_sub_f16_e32 v13, v13, v36
	v_sub_f16_e32 v36, v37, v64
	v_add_f16_e32 v37, v23, v26
	v_add_f16_e32 v64, v60, v63
	v_mul_f16_sdwa v69, v33, v1 dst_sel:DWORD dst_unused:UNUSED_PAD src0_sel:DWORD src1_sel:WORD_1
	v_mul_f16_sdwa v70, v14, v1 dst_sel:DWORD dst_unused:UNUSED_PAD src0_sel:DWORD src1_sel:WORD_1
	;; [unrolled: 1-line block ×6, first 2 shown]
	v_sub_f16_e32 v23, v23, v26
	v_sub_f16_e32 v26, v60, v63
	v_add_f16_e32 v60, v24, v25
	v_add_f16_e32 v63, v61, v62
	v_sub_f16_e32 v24, v25, v24
	v_sub_f16_e32 v25, v62, v61
	v_add_f16_e32 v61, v37, v67
	v_add_f16_e32 v62, v64, v68
	v_fma_f16 v14, v14, v1, -v69
	v_fma_f16 v33, v33, v1, v70
	v_fma_f16 v15, v15, v2, -v71
	v_fma_f16 v35, v35, v2, v72
	;; [unrolled: 2-line block ×3, first 2 shown]
	v_sub_f16_e32 v69, v37, v67
	v_sub_f16_e32 v70, v64, v68
	;; [unrolled: 1-line block ×6, first 2 shown]
	v_add_f16_e32 v71, v24, v23
	v_add_f16_e32 v72, v25, v26
	v_sub_f16_e32 v73, v24, v23
	v_sub_f16_e32 v74, v25, v26
	v_add_f16_e32 v60, v60, v61
	v_add_f16_e32 v61, v63, v62
	v_sub_f16_e32 v24, v13, v24
	v_sub_f16_e32 v25, v36, v25
	;; [unrolled: 1-line block ×4, first 2 shown]
	v_add_f16_e32 v13, v71, v13
	v_add_f16_e32 v36, v72, v36
	;; [unrolled: 1-line block ×3, first 2 shown]
	v_add_f16_sdwa v72, v12, v61 dst_sel:DWORD dst_unused:UNUSED_PAD src0_sel:WORD_1 src1_sel:DWORD
	v_mul_f16_e32 v12, 0x3a52, v67
	v_mul_f16_e32 v62, 0x3a52, v68
	;; [unrolled: 1-line block ×6, first 2 shown]
	v_mul_f16_sdwa v76, v9, v19 dst_sel:DWORD dst_unused:UNUSED_PAD src0_sel:DWORD src1_sel:WORD_1
	v_fma_f16 v9, v9, v19, -v75
	v_mul_f16_e32 v74, 0x3b00, v23
	v_mul_f16_e32 v75, 0x3b00, v26
	v_fma_f16 v63, v69, s17, -v63
	v_fma_f16 v67, v70, s17, -v67
	s_mov_b32 s17, 0xb9e0
	v_fma_f16 v23, v23, s5, -v68
	v_fma_f16 v26, v26, s5, -v73
	s_mov_b32 s5, 0xb574
	v_mul_f16_sdwa v77, v28, v20 dst_sel:DWORD dst_unused:UNUSED_PAD src0_sel:DWORD src1_sel:WORD_1
	v_mul_f16_sdwa v78, v27, v20 dst_sel:DWORD dst_unused:UNUSED_PAD src0_sel:DWORD src1_sel:WORD_1
	v_fma_f16 v60, v60, s16, v71
	v_fma_f16 v61, v61, s16, v72
	;; [unrolled: 1-line block ×4, first 2 shown]
	v_fma_f16 v12, v69, s17, -v12
	v_fma_f16 v62, v70, s17, -v62
	v_fma_f16 v69, v24, s18, v68
	v_fma_f16 v70, v25, s18, v73
	v_fma_f16 v24, v24, s5, -v74
	v_fma_f16 v25, v25, s5, -v75
	v_fma_f16 v29, v29, v19, v76
	v_fma_f16 v27, v27, v20, -v77
	v_fma_f16 v28, v28, v20, v78
	v_add_f16_e32 v37, v37, v60
	v_add_f16_e32 v64, v64, v61
	;; [unrolled: 1-line block ×6, first 2 shown]
	v_fma_f16 v61, v13, s19, v69
	v_fma_f16 v23, v13, s19, v23
	;; [unrolled: 1-line block ×6, first 2 shown]
	v_add_f16_e32 v70, v24, v12
	v_sub_f16_e32 v73, v60, v13
	v_add_f16_e32 v75, v23, v67
	v_sub_f16_e32 v67, v67, v23
	v_sub_f16_e32 v77, v12, v24
	v_add_f16_e32 v78, v13, v60
	v_add_f16_e32 v13, v11, v27
	;; [unrolled: 1-line block ×3, first 2 shown]
	v_sub_f16_e32 v24, v11, v27
	v_add_f16_e32 v25, v14, v9
	v_add_f16_e32 v27, v33, v29
	v_sub_f16_e32 v74, v63, v26
	v_add_f16_e32 v76, v26, v63
	v_sub_f16_e32 v26, v32, v28
	v_sub_f16_e32 v9, v14, v9
	;; [unrolled: 1-line block ×3, first 2 shown]
	v_add_f16_e32 v29, v15, v8
	v_add_f16_e32 v32, v35, v34
	v_sub_f16_e32 v8, v8, v15
	v_sub_f16_e32 v15, v34, v35
	v_add_f16_e32 v33, v25, v13
	v_add_f16_e32 v34, v27, v23
	;; [unrolled: 1-line block ×3, first 2 shown]
	v_sub_f16_e32 v69, v64, v61
	v_sub_f16_e32 v79, v37, v62
	v_add_f16_e32 v80, v61, v64
	v_sub_f16_e32 v11, v25, v13
	v_sub_f16_e32 v12, v27, v23
	;; [unrolled: 1-line block ×6, first 2 shown]
	v_add_f16_e32 v25, v8, v9
	v_add_f16_e32 v27, v15, v28
	v_sub_f16_e32 v36, v8, v9
	v_sub_f16_e32 v37, v15, v28
	;; [unrolled: 1-line block ×5, first 2 shown]
	v_add_f16_e32 v29, v29, v33
	v_add_f16_e32 v32, v32, v34
	v_mul_u32_u24_e32 v62, 0xee, v65
	v_sub_f16_e32 v60, v24, v8
	v_add_f16_e32 v25, v25, v24
	v_add_f16_e32 v26, v27, v26
	v_add_f16_e32 v8, v10, v29
	v_add_f16_e32 v9, v31, v32
	v_mul_f16_e32 v24, 0x3a52, v35
	v_mul_f16_e32 v23, 0x3a52, v23
	;; [unrolled: 1-line block ×6, first 2 shown]
	v_add_lshl_u32 v62, v62, v66, 2
	v_pack_b32_f16 v65, v71, v72
	v_pack_b32_f16 v66, v68, v69
	v_fma_f16 v15, v29, s16, v8
	v_fma_f16 v34, v32, s16, v9
	;; [unrolled: 1-line block ×4, first 2 shown]
	v_fma_f16 v24, v11, s17, -v24
	v_fma_f16 v23, v12, s17, -v23
	v_fma_f16 v35, v60, s18, v27
	v_fma_f16 v36, v61, s18, v10
	v_fma_f16 v60, v60, s5, -v31
	v_fma_f16 v61, v61, s5, -v28
	ds_write2_b32 v62, v65, v66 offset1:34
	v_pack_b32_f16 v65, v70, v73
	v_pack_b32_f16 v66, v74, v75
	v_add_f16_e32 v29, v29, v15
	v_add_f16_e32 v32, v32, v34
	;; [unrolled: 1-line block ×4, first 2 shown]
	v_fma_f16 v35, v25, s19, v35
	v_fma_f16 v36, v26, s19, v36
	;; [unrolled: 1-line block ×4, first 2 shown]
	ds_write2_b32 v62, v65, v66 offset0:68 offset1:102
	v_pack_b32_f16 v65, v76, v67
	v_pack_b32_f16 v66, v77, v78
	v_sub_f16_e32 v23, v33, v61
	v_add_f16_e32 v63, v60, v37
	v_sub_f16_e32 v24, v29, v36
	v_add_f16_e32 v64, v35, v32
	ds_write2_b32 v62, v65, v66 offset0:136 offset1:170
	v_pack_b32_f16 v65, v79, v80
	ds_write_b32 v62, v65 offset:816
	s_and_saveexec_b64 s[4:5], s[2:3]
	s_cbranch_execz .LBB0_11
; %bb.10:
	v_mul_f16_e32 v14, 0x2b26, v14
	v_mul_f16_e32 v12, 0x39e0, v12
	s_movk_i32 s16, 0xf1
	v_mul_f16_e32 v13, 0x2b26, v13
	v_mul_f16_e32 v11, 0x39e0, v11
	v_sub_f16_e32 v12, v12, v14
	v_sub_f16_e32 v14, v31, v27
	v_mul_lo_u16_sdwa v27, v30, s16 dst_sel:DWORD dst_unused:UNUSED_PAD src0_sel:BYTE_0 src1_sel:DWORD
	v_mul_f16_e32 v25, 0x370e, v25
	v_mul_f16_e32 v26, 0x370e, v26
	v_sub_f16_e32 v10, v28, v10
	v_sub_f16_e32 v11, v11, v13
	v_lshrrev_b16_e32 v27, 13, v27
	v_add_f16_e32 v12, v12, v34
	v_add_f16_e32 v14, v25, v14
	;; [unrolled: 1-line block ×4, first 2 shown]
	v_sub_f16_e32 v15, v32, v35
	v_add_f16_e32 v26, v36, v29
	v_mul_u32_u24_e32 v27, 0xee, v27
	s_mov_b32 s16, 0x5040100
	v_sub_f16_e32 v25, v12, v14
	v_add_f16_e32 v13, v10, v11
	v_add_f16_e32 v12, v14, v12
	v_sub_f16_e32 v10, v11, v10
	v_sub_f16_e32 v11, v37, v60
	v_add_f16_e32 v14, v61, v33
	v_add_lshl_u32 v27, v27, v47, 2
	v_perm_b32 v8, v9, v8, s16
	v_pack_b32_f16 v9, v26, v15
	ds_write2_b32 v27, v8, v9 offset1:34
	v_pack_b32_f16 v8, v14, v11
	v_pack_b32_f16 v9, v10, v12
	ds_write2_b32 v27, v8, v9 offset0:68 offset1:102
	v_pack_b32_f16 v8, v13, v25
	v_perm_b32 v9, v63, v23, s16
	ds_write2_b32 v27, v8, v9 offset0:136 offset1:170
	v_perm_b32 v8, v64, v24, s16
	ds_write_b32 v27, v8 offset:816
.LBB0_11:
	s_or_b64 exec, exec, s[4:5]
	v_mad_u64_u32 v[25:26], s[4:5], v39, 20, s[14:15]
	s_waitcnt lgkmcnt(0)
	s_barrier
	global_load_dwordx4 v[8:11], v[25:26], off offset:884
	global_load_dword v60, v[25:26], off offset:900
	global_load_dwordx4 v[12:15], v[25:26], off offset:3264
	global_load_dword v61, v[25:26], off offset:3280
	v_add_u32_e32 v77, 0x200, v40
	ds_read2_b32 v[30:31], v40 offset1:119
	v_add_u32_e32 v78, 0x600, v40
	v_add_u32_e32 v79, 0xa00, v40
	v_add_u32_e32 v80, 0xe00, v40
	v_add_u32_e32 v81, 0x1200, v40
	ds_read2_b32 v[25:26], v77 offset0:110 offset1:229
	ds_read2_b32 v[27:28], v78 offset0:92 offset1:211
	;; [unrolled: 1-line block ×5, first 2 shown]
	s_waitcnt lgkmcnt(4)
	v_lshrrev_b32_e32 v65, 16, v25
	s_waitcnt lgkmcnt(3)
	v_lshrrev_b32_e32 v66, 16, v27
	v_lshrrev_b32_e32 v70, 16, v26
	s_waitcnt lgkmcnt(1)
	v_lshrrev_b32_e32 v68, 16, v34
	v_lshrrev_b32_e32 v72, 16, v28
	;; [unrolled: 1-line block ×3, first 2 shown]
	s_waitcnt lgkmcnt(0)
	v_lshrrev_b32_e32 v69, 16, v36
	v_lshrrev_b32_e32 v29, 16, v30
	s_movk_i32 s4, 0x3aee
	s_mov_b32 s5, 0xbaee
	v_lshrrev_b32_e32 v74, 16, v35
	v_lshrrev_b32_e32 v71, 16, v31
	;; [unrolled: 1-line block ×4, first 2 shown]
	s_waitcnt vmcnt(3)
	v_mul_f16_sdwa v83, v66, v9 dst_sel:DWORD dst_unused:UNUSED_PAD src0_sel:DWORD src1_sel:WORD_1
	v_mul_f16_sdwa v87, v68, v11 dst_sel:DWORD dst_unused:UNUSED_PAD src0_sel:DWORD src1_sel:WORD_1
	;; [unrolled: 1-line block ×5, first 2 shown]
	s_waitcnt vmcnt(1)
	v_mul_f16_sdwa v91, v70, v12 dst_sel:DWORD dst_unused:UNUSED_PAD src0_sel:DWORD src1_sel:WORD_1
	v_mul_f16_sdwa v93, v72, v13 dst_sel:DWORD dst_unused:UNUSED_PAD src0_sel:DWORD src1_sel:WORD_1
	v_fma_f16 v27, v27, v9, -v83
	v_fma_f16 v34, v34, v11, -v87
	v_mul_f16_sdwa v82, v25, v8 dst_sel:DWORD dst_unused:UNUSED_PAD src0_sel:DWORD src1_sel:WORD_1
	v_mul_f16_sdwa v85, v67, v10 dst_sel:DWORD dst_unused:UNUSED_PAD src0_sel:DWORD src1_sel:WORD_1
	;; [unrolled: 1-line block ×5, first 2 shown]
	v_fma_f16 v25, v25, v8, -v76
	v_fma_f16 v66, v66, v9, v84
	v_fma_f16 v68, v68, v11, v88
	v_fma_f16 v76, v26, v12, -v91
	v_fma_f16 v83, v28, v13, -v93
	v_add_f16_e32 v26, v30, v27
	v_add_f16_e32 v28, v27, v34
	v_mul_f16_sdwa v86, v32, v10 dst_sel:DWORD dst_unused:UNUSED_PAD src0_sel:DWORD src1_sel:WORD_1
	v_mul_f16_sdwa v90, v36, v60 dst_sel:DWORD dst_unused:UNUSED_PAD src0_sel:DWORD src1_sel:WORD_1
	v_fma_f16 v65, v65, v8, v82
	v_fma_f16 v32, v32, v10, -v85
	v_fma_f16 v36, v36, v60, -v89
	v_fma_f16 v82, v70, v12, v92
	v_sub_f16_e32 v70, v66, v68
	v_add_f16_e32 v84, v29, v66
	v_add_f16_e32 v66, v66, v68
	v_sub_f16_e32 v27, v27, v34
	v_add_f16_e32 v34, v26, v34
	v_fma_f16 v26, v28, -0.5, v30
	v_fma_f16 v67, v67, v10, v86
	v_fma_f16 v69, v69, v60, v90
	v_fma_f16 v28, v66, -0.5, v29
	v_fma_f16 v29, v70, s4, v26
	v_fma_f16 v30, v70, s5, v26
	v_add_f16_e32 v26, v32, v36
	v_add_f16_e32 v85, v25, v32
	v_fma_f16 v25, v26, -0.5, v25
	v_sub_f16_e32 v26, v67, v69
	v_add_f16_e32 v68, v84, v68
	v_fma_f16 v70, v27, s5, v28
	v_fma_f16 v84, v27, s4, v28
	v_add_f16_e32 v28, v85, v36
	v_fma_f16 v66, v26, s4, v25
	v_fma_f16 v85, v26, s5, v25
	v_add_f16_e32 v25, v65, v67
	v_add_f16_e32 v86, v25, v69
	;; [unrolled: 1-line block ×3, first 2 shown]
	v_fma_f16 v25, v25, -0.5, v65
	v_sub_f16_e32 v26, v32, v36
	v_fma_f16 v32, v26, s5, v25
	v_fma_f16 v36, v26, s4, v25
	v_mul_f16_e32 v26, 0x3aee, v32
	v_fma_f16 v69, v66, 0.5, v26
	v_mul_f16_e32 v66, 0xbaee, v66
	v_mul_f16_sdwa v97, v74, v15 dst_sel:DWORD dst_unused:UNUSED_PAD src0_sel:DWORD src1_sel:WORD_1
	v_fma_f16 v32, v32, 0.5, v66
	v_mul_f16_sdwa v98, v35, v15 dst_sel:DWORD dst_unused:UNUSED_PAD src0_sel:DWORD src1_sel:WORD_1
	v_fma_f16 v35, v35, v15, -v97
	v_add_f16_e32 v26, v29, v69
	v_mul_f16_e32 v27, -0.5, v85
	v_add_f16_e32 v66, v70, v32
	v_sub_f16_e32 v29, v29, v69
	v_sub_f16_e32 v69, v70, v32
	v_add_f16_e32 v32, v31, v83
	v_fma_f16 v72, v72, v13, v94
	v_fma_f16 v74, v74, v15, v98
	v_add_f16_e32 v25, v34, v28
	v_fma_f16 v87, v36, s4, v27
	v_mul_f16_e32 v36, -0.5, v36
	v_sub_f16_e32 v28, v34, v28
	v_add_f16_e32 v34, v32, v35
	v_add_f16_e32 v32, v83, v35
	v_fma_f16 v36, v85, s5, v36
	v_fma_f16 v31, v32, -0.5, v31
	v_sub_f16_e32 v32, v72, v74
	v_add_f16_e32 v67, v84, v36
	v_sub_f16_e32 v70, v84, v36
	v_fma_f16 v36, v32, s4, v31
	v_fma_f16 v84, v32, s5, v31
	v_add_f16_e32 v31, v71, v72
	v_mul_f16_sdwa v95, v73, v14 dst_sel:DWORD dst_unused:UNUSED_PAD src0_sel:DWORD src1_sel:WORD_1
	v_add_f16_e32 v85, v31, v74
	v_add_f16_e32 v31, v72, v74
	v_mul_f16_sdwa v96, v33, v14 dst_sel:DWORD dst_unused:UNUSED_PAD src0_sel:DWORD src1_sel:WORD_1
	s_waitcnt vmcnt(0)
	v_mul_f16_sdwa v99, v75, v61 dst_sel:DWORD dst_unused:UNUSED_PAD src0_sel:DWORD src1_sel:WORD_1
	v_fma_f16 v33, v33, v14, -v95
	v_fma_f16 v31, v31, -0.5, v71
	v_sub_f16_e32 v32, v83, v35
	v_mul_f16_sdwa v100, v37, v61 dst_sel:DWORD dst_unused:UNUSED_PAD src0_sel:DWORD src1_sel:WORD_1
	v_fma_f16 v37, v37, v61, -v99
	v_add_f16_e32 v65, v68, v86
	v_sub_f16_e32 v68, v68, v86
	v_fma_f16 v83, v32, s5, v31
	v_fma_f16 v86, v32, s4, v31
	v_add_f16_e32 v31, v76, v33
	v_fma_f16 v73, v73, v14, v96
	v_fma_f16 v75, v75, v61, v100
	v_add_f16_e32 v35, v31, v37
	v_add_f16_e32 v31, v33, v37
	v_fma_f16 v31, v31, -0.5, v76
	v_sub_f16_e32 v32, v73, v75
	v_fma_f16 v72, v32, s4, v31
	v_fma_f16 v74, v32, s5, v31
	v_add_f16_e32 v31, v82, v73
	v_add_f16_e32 v76, v31, v75
	;; [unrolled: 1-line block ×3, first 2 shown]
	v_fma_f16 v31, v31, -0.5, v82
	v_sub_f16_e32 v32, v33, v37
	v_fma_f16 v37, v32, s5, v31
	v_fma_f16 v73, v32, s4, v31
	v_mul_f16_e32 v32, 0x3aee, v37
	v_mul_f16_e32 v33, -0.5, v74
	v_fma_f16 v75, v72, 0.5, v32
	v_fma_f16 v82, v73, s4, v33
	v_mul_f16_e32 v72, 0xbaee, v72
	v_mul_f16_e32 v73, -0.5, v73
	v_add_f16_e32 v27, v30, v87
	v_sub_f16_e32 v30, v30, v87
	v_add_f16_e32 v31, v34, v35
	v_add_f16_e32 v71, v85, v76
	v_fma_f16 v37, v37, 0.5, v72
	v_fma_f16 v87, v74, s5, v73
	v_add_f16_e32 v32, v36, v75
	v_add_f16_e32 v72, v83, v37
	v_add_f16_e32 v73, v86, v87
	v_sub_f16_e32 v34, v34, v35
	v_sub_f16_e32 v35, v36, v75
	;; [unrolled: 1-line block ×5, first 2 shown]
	v_pack_b32_f16 v37, v25, v65
	v_pack_b32_f16 v87, v31, v71
	v_add_f16_e32 v33, v84, v82
	v_sub_f16_e32 v36, v84, v82
	v_pack_b32_f16 v82, v26, v66
	ds_write2_b32 v40, v37, v87 offset1:119
	v_pack_b32_f16 v37, v32, v72
	v_pack_b32_f16 v83, v27, v67
	ds_write2_b32 v77, v82, v37 offset0:110 offset1:229
	v_pack_b32_f16 v37, v33, v73
	v_pack_b32_f16 v84, v28, v68
	ds_write2_b32 v78, v83, v37 offset0:92 offset1:211
	;; [unrolled: 3-line block ×4, first 2 shown]
	v_pack_b32_f16 v37, v36, v76
	ds_write2_b32 v81, v86, v37 offset0:38 offset1:157
	s_waitcnt lgkmcnt(0)
	s_barrier
	s_and_saveexec_b64 s[4:5], s[0:1]
	s_cbranch_execz .LBB0_13
; %bb.12:
	v_mov_b32_e32 v37, s7
	v_add_co_u32_e32 v81, vcc, s6, v38
	v_addc_co_u32_e32 v37, vcc, 0, v37, vcc
	v_add_co_u32_e32 v77, vcc, 0x1650, v81
	v_addc_co_u32_e32 v78, vcc, 0, v37, vcc
	;; [unrolled: 2-line block ×3, first 2 shown]
	global_load_dword v82, v[79:80], off offset:1616
	global_load_dword v85, v[77:78], off offset:336
	;; [unrolled: 1-line block ×11, first 2 shown]
	s_movk_i32 s14, 0x2000
	v_add_co_u32_e32 v79, vcc, s14, v81
	ds_read_b32 v83, v40
	v_addc_co_u32_e32 v80, vcc, 0, v37, vcc
	global_load_dword v37, v[77:78], off offset:3696
	global_load_dword v98, v[79:80], off offset:1888
	;; [unrolled: 1-line block ×6, first 2 shown]
	s_waitcnt lgkmcnt(0)
	v_lshrrev_b32_e32 v77, 16, v83
	v_add_u32_e32 v93, 0x200, v38
	v_add_u32_e32 v94, 0x400, v38
	;; [unrolled: 1-line block ×3, first 2 shown]
	s_waitcnt vmcnt(16)
	v_mul_f16_sdwa v78, v77, v82 dst_sel:DWORD dst_unused:UNUSED_PAD src0_sel:DWORD src1_sel:WORD_1
	v_mul_f16_sdwa v81, v83, v82 dst_sel:DWORD dst_unused:UNUSED_PAD src0_sel:DWORD src1_sel:WORD_1
	v_fma_f16 v78, v83, v82, -v78
	v_fma_f16 v77, v77, v82, v81
	v_pack_b32_f16 v77, v78, v77
	ds_write_b32 v40, v77
	ds_read2_b32 v[77:78], v38 offset0:84 offset1:168
	ds_read2_b32 v[79:80], v93 offset0:124 offset1:208
	;; [unrolled: 1-line block ×4, first 2 shown]
	s_waitcnt lgkmcnt(2)
	v_lshrrev_b32_e32 v107, 16, v79
	v_lshrrev_b32_e32 v103, 16, v77
	s_waitcnt vmcnt(15)
	v_mul_f16_sdwa v104, v77, v85 dst_sel:DWORD dst_unused:UNUSED_PAD src0_sel:DWORD src1_sel:WORD_1
	v_lshrrev_b32_e32 v105, 16, v78
	s_waitcnt vmcnt(14)
	v_mul_f16_sdwa v106, v78, v86 dst_sel:DWORD dst_unused:UNUSED_PAD src0_sel:DWORD src1_sel:WORD_1
	s_waitcnt vmcnt(13)
	v_mul_f16_sdwa v108, v79, v87 dst_sel:DWORD dst_unused:UNUSED_PAD src0_sel:DWORD src1_sel:WORD_1
	v_lshrrev_b32_e32 v109, 16, v80
	s_waitcnt vmcnt(12)
	v_mul_f16_sdwa v110, v80, v88 dst_sel:DWORD dst_unused:UNUSED_PAD src0_sel:DWORD src1_sel:WORD_1
	s_waitcnt lgkmcnt(1)
	v_lshrrev_b32_e32 v111, 16, v81
	s_waitcnt vmcnt(11)
	v_mul_f16_sdwa v112, v81, v89 dst_sel:DWORD dst_unused:UNUSED_PAD src0_sel:DWORD src1_sel:WORD_1
	v_lshrrev_b32_e32 v113, 16, v82
	v_mul_f16_sdwa v118, v103, v85 dst_sel:DWORD dst_unused:UNUSED_PAD src0_sel:DWORD src1_sel:WORD_1
	v_fma_f16 v103, v103, v85, v104
	v_mul_f16_sdwa v104, v105, v86 dst_sel:DWORD dst_unused:UNUSED_PAD src0_sel:DWORD src1_sel:WORD_1
	v_fma_f16 v105, v105, v86, v106
	;; [unrolled: 2-line block ×4, first 2 shown]
	v_mul_f16_sdwa v110, v111, v89 dst_sel:DWORD dst_unused:UNUSED_PAD src0_sel:DWORD src1_sel:WORD_1
	s_waitcnt vmcnt(10)
	v_mul_f16_sdwa v114, v82, v90 dst_sel:DWORD dst_unused:UNUSED_PAD src0_sel:DWORD src1_sel:WORD_1
	v_fma_f16 v111, v111, v89, v112
	v_mul_f16_sdwa v112, v113, v90 dst_sel:DWORD dst_unused:UNUSED_PAD src0_sel:DWORD src1_sel:WORD_1
	v_fma_f16 v77, v77, v85, -v118
	v_fma_f16 v78, v78, v86, -v104
	v_fma_f16 v81, v81, v89, -v110
	s_waitcnt lgkmcnt(0)
	v_lshrrev_b32_e32 v117, 16, v84
	v_fma_f16 v113, v113, v90, v114
	v_fma_f16 v79, v79, v87, -v106
	v_fma_f16 v80, v80, v88, -v108
	;; [unrolled: 1-line block ×3, first 2 shown]
	v_pack_b32_f16 v77, v77, v103
	v_pack_b32_f16 v78, v78, v105
	;; [unrolled: 1-line block ×6, first 2 shown]
	ds_write2_b32 v38, v77, v78 offset0:84 offset1:168
	ds_write2_b32 v93, v79, v80 offset0:124 offset1:208
	;; [unrolled: 1-line block ×3, first 2 shown]
	s_waitcnt vmcnt(8)
	v_mul_f16_sdwa v77, v117, v92 dst_sel:DWORD dst_unused:UNUSED_PAD src0_sel:DWORD src1_sel:WORD_1
	v_add_u32_e32 v81, 0xa00, v38
	v_fma_f16 v79, v84, v92, -v77
	ds_read2_b32 v[77:78], v81 offset0:116 offset1:200
	v_lshrrev_b32_e32 v115, 16, v83
	v_mul_f16_sdwa v116, v83, v91 dst_sel:DWORD dst_unused:UNUSED_PAD src0_sel:DWORD src1_sel:WORD_1
	v_mul_f16_sdwa v114, v115, v91 dst_sel:DWORD dst_unused:UNUSED_PAD src0_sel:DWORD src1_sel:WORD_1
	;; [unrolled: 1-line block ×3, first 2 shown]
	v_fma_f16 v115, v115, v91, v116
	v_fma_f16 v83, v83, v91, -v114
	v_fma_f16 v80, v117, v92, v80
	v_pack_b32_f16 v83, v83, v115
	v_pack_b32_f16 v79, v79, v80
	ds_write2_b32 v96, v83, v79 offset0:76 offset1:160
	s_waitcnt lgkmcnt(1)
	v_lshrrev_b32_e32 v79, 16, v77
	s_waitcnt vmcnt(7)
	v_mul_f16_sdwa v80, v79, v95 dst_sel:DWORD dst_unused:UNUSED_PAD src0_sel:DWORD src1_sel:WORD_1
	v_fma_f16 v80, v77, v95, -v80
	v_mul_f16_sdwa v77, v77, v95 dst_sel:DWORD dst_unused:UNUSED_PAD src0_sel:DWORD src1_sel:WORD_1
	v_lshrrev_b32_e32 v82, 16, v78
	v_fma_f16 v77, v79, v95, v77
	s_waitcnt vmcnt(6)
	v_mul_f16_sdwa v79, v82, v97 dst_sel:DWORD dst_unused:UNUSED_PAD src0_sel:DWORD src1_sel:WORD_1
	v_add_u32_e32 v84, 0xc00, v38
	v_pack_b32_f16 v77, v80, v77
	v_fma_f16 v83, v78, v97, -v79
	ds_read2_b32 v[79:80], v84 offset0:156 offset1:240
	v_mul_f16_sdwa v78, v78, v97 dst_sel:DWORD dst_unused:UNUSED_PAD src0_sel:DWORD src1_sel:WORD_1
	v_fma_f16 v78, v82, v97, v78
	v_pack_b32_f16 v78, v83, v78
	ds_write2_b32 v81, v77, v78 offset0:116 offset1:200
	s_waitcnt lgkmcnt(1)
	v_lshrrev_b32_e32 v77, 16, v79
	s_waitcnt vmcnt(5)
	v_mul_f16_sdwa v78, v77, v37 dst_sel:DWORD dst_unused:UNUSED_PAD src0_sel:DWORD src1_sel:WORD_1
	v_fma_f16 v78, v79, v37, -v78
	v_mul_f16_sdwa v79, v79, v37 dst_sel:DWORD dst_unused:UNUSED_PAD src0_sel:DWORD src1_sel:WORD_1
	v_fma_f16 v37, v77, v37, v79
	v_lshrrev_b32_e32 v79, 16, v80
	s_waitcnt vmcnt(1)
	v_mul_f16_sdwa v77, v79, v101 dst_sel:DWORD dst_unused:UNUSED_PAD src0_sel:DWORD src1_sel:WORD_1
	v_add_u32_e32 v82, 0x1000, v38
	v_pack_b32_f16 v37, v78, v37
	v_fma_f16 v81, v80, v101, -v77
	ds_read2_b32 v[77:78], v82 offset0:68 offset1:152
	v_mul_f16_sdwa v80, v80, v101 dst_sel:DWORD dst_unused:UNUSED_PAD src0_sel:DWORD src1_sel:WORD_1
	v_fma_f16 v79, v79, v101, v80
	v_pack_b32_f16 v79, v81, v79
	ds_write2_b32 v84, v37, v79 offset0:156 offset1:240
	s_waitcnt lgkmcnt(1)
	v_lshrrev_b32_e32 v37, 16, v77
	v_mul_f16_sdwa v79, v37, v98 dst_sel:DWORD dst_unused:UNUSED_PAD src0_sel:DWORD src1_sel:WORD_1
	v_fma_f16 v79, v77, v98, -v79
	v_mul_f16_sdwa v77, v77, v98 dst_sel:DWORD dst_unused:UNUSED_PAD src0_sel:DWORD src1_sel:WORD_1
	v_fma_f16 v37, v37, v98, v77
	v_lshrrev_b32_e32 v77, 16, v78
	v_pack_b32_f16 v37, v79, v37
	v_mul_f16_sdwa v79, v77, v99 dst_sel:DWORD dst_unused:UNUSED_PAD src0_sel:DWORD src1_sel:WORD_1
	v_add_u32_e32 v83, 0x1200, v38
	v_fma_f16 v81, v78, v99, -v79
	ds_read2_b32 v[79:80], v83 offset0:108 offset1:192
	v_mul_f16_sdwa v78, v78, v99 dst_sel:DWORD dst_unused:UNUSED_PAD src0_sel:DWORD src1_sel:WORD_1
	v_fma_f16 v77, v77, v99, v78
	v_pack_b32_f16 v77, v81, v77
	ds_write2_b32 v82, v37, v77 offset0:68 offset1:152
	s_waitcnt lgkmcnt(1)
	v_lshrrev_b32_e32 v37, 16, v79
	v_mul_f16_sdwa v77, v37, v100 dst_sel:DWORD dst_unused:UNUSED_PAD src0_sel:DWORD src1_sel:WORD_1
	v_mul_f16_sdwa v78, v79, v100 dst_sel:DWORD dst_unused:UNUSED_PAD src0_sel:DWORD src1_sel:WORD_1
	v_fma_f16 v77, v79, v100, -v77
	v_fma_f16 v37, v37, v100, v78
	v_pack_b32_f16 v37, v77, v37
	v_lshrrev_b32_e32 v77, 16, v80
	s_waitcnt vmcnt(0)
	v_mul_f16_sdwa v78, v77, v102 dst_sel:DWORD dst_unused:UNUSED_PAD src0_sel:DWORD src1_sel:WORD_1
	v_mul_f16_sdwa v79, v80, v102 dst_sel:DWORD dst_unused:UNUSED_PAD src0_sel:DWORD src1_sel:WORD_1
	v_fma_f16 v78, v80, v102, -v78
	v_fma_f16 v77, v77, v102, v79
	v_pack_b32_f16 v77, v78, v77
	ds_write2_b32 v83, v37, v77 offset0:108 offset1:192
.LBB0_13:
	s_or_b64 exec, exec, s[4:5]
	s_waitcnt lgkmcnt(0)
	s_barrier
	s_and_saveexec_b64 s[4:5], s[0:1]
	s_cbranch_execz .LBB0_15
; %bb.14:
	v_add_u32_e32 v17, 0x400, v40
	ds_read2_b32 v[25:26], v40 offset1:84
	ds_read2_b32 v[27:28], v40 offset0:168 offset1:252
	ds_read2_b32 v[29:30], v17 offset0:80 offset1:164
	v_add_u32_e32 v17, 0x600, v40
	ds_read2_b32 v[31:32], v17 offset0:120 offset1:204
	v_add_u32_e32 v17, 0x800, v40
	;; [unrolled: 2-line block ×5, first 2 shown]
	ds_read2_b32 v[17:18], v17 offset0:152 offset1:236
	ds_read_b32 v42, v40 offset:5376
	s_waitcnt lgkmcnt(8)
	v_lshrrev_b32_e32 v65, 16, v25
	v_lshrrev_b32_e32 v66, 16, v26
	s_waitcnt lgkmcnt(7)
	v_lshrrev_b32_e32 v67, 16, v27
	v_lshrrev_b32_e32 v68, 16, v28
	;; [unrolled: 3-line block ×8, first 2 shown]
	s_waitcnt lgkmcnt(0)
	v_lshrrev_b32_e32 v45, 16, v42
.LBB0_15:
	s_or_b64 exec, exec, s[4:5]
	v_sub_f16_e32 v96, v66, v45
	v_add_f16_e32 v80, v42, v26
	v_add_f16_e32 v98, v45, v66
	s_movk_i32 s14, 0x2de8
	v_mul_f16_e32 v115, 0xbbf7, v96
	v_sub_f16_e32 v97, v67, v43
	v_sub_f16_e32 v81, v26, v42
	s_mov_b32 s17, 0xbbf7
	v_mul_f16_e32 v116, 0x2de8, v98
	v_fma_f16 v37, v80, s14, -v115
	v_add_f16_e32 v82, v18, v27
	v_add_f16_e32 v100, v43, v67
	s_mov_b32 s16, 0xbbdd
	v_mul_f16_e32 v117, 0xb1e1, v97
	v_add_f16_e32 v37, v25, v37
	v_fma_f16 v77, v81, s17, v116
	s_mov_b32 s15, 0xb461
	v_mul_f16_e32 v120, 0xbbb2, v96
	v_sub_f16_e32 v83, v27, v18
	s_mov_b32 s20, 0xb1e1
	v_mul_f16_e32 v118, 0xbbdd, v100
	v_fma_f16 v84, v82, s16, -v117
	v_add_f16_e32 v77, v65, v77
	s_mov_b32 s19, 0xbbb2
	v_mul_f16_e32 v123, 0xb461, v98
	v_fma_f16 v78, v80, s15, -v120
	v_add_f16_e32 v37, v84, v37
	v_fma_f16 v84, v83, s20, v118
	s_mov_b32 s18, 0xbacd
	v_mul_f16_e32 v124, 0x3836, v97
	v_add_f16_e32 v78, v25, v78
	v_fma_f16 v79, v81, s19, v123
	v_add_f16_e32 v77, v84, v77
	s_movk_i32 s24, 0x3836
	v_mul_f16_e32 v127, 0xbacd, v100
	v_fma_f16 v84, v82, s18, -v124
	v_add_f16_e32 v79, v65, v79
	v_add_f16_e32 v78, v84, v78
	v_fma_f16 v84, v83, s24, v127
	v_sub_f16_e32 v99, v68, v44
	v_add_f16_e32 v79, v84, v79
	v_add_f16_e32 v84, v17, v28
	v_add_f16_e32 v103, v44, v68
	v_mul_f16_e32 v119, 0x3bb2, v99
	v_sub_f16_e32 v86, v28, v17
	s_movk_i32 s25, 0x3bb2
	v_mul_f16_e32 v121, 0xb461, v103
	v_fma_f16 v85, v84, s15, -v119
	v_add_f16_e32 v37, v85, v37
	v_fma_f16 v85, v86, s25, v121
	s_movk_i32 s21, 0x39e9
	v_mul_f16_e32 v128, 0x3964, v99
	v_add_f16_e32 v77, v85, v77
	s_movk_i32 s30, 0x3964
	v_mul_f16_e32 v131, 0x39e9, v103
	v_fma_f16 v85, v84, s21, -v128
	v_add_f16_e32 v78, v85, v78
	v_fma_f16 v85, v86, s30, v131
	v_sub_f16_e32 v102, v69, v64
	v_add_f16_e32 v79, v85, v79
	v_add_f16_e32 v85, v24, v29
	;; [unrolled: 1-line block ×3, first 2 shown]
	s_movk_i32 s22, 0x3b76
	v_mul_f16_e32 v122, 0x35c8, v102
	v_sub_f16_e32 v87, v29, v24
	s_movk_i32 s27, 0x35c8
	v_mul_f16_e32 v126, 0x3b76, v106
	v_fma_f16 v88, v85, s22, -v122
	v_add_f16_e32 v37, v88, v37
	v_fma_f16 v88, v87, s27, v126
	s_movk_i32 s23, 0x3722
	v_mul_f16_e32 v132, 0xbb29, v102
	v_add_f16_e32 v77, v88, v77
	s_mov_b32 s26, 0xbb29
	v_mul_f16_e32 v136, 0x3722, v106
	v_fma_f16 v88, v85, s23, -v132
	v_add_f16_e32 v78, v88, v78
	v_fma_f16 v88, v87, s26, v136
	v_sub_f16_e32 v104, v70, v63
	v_add_f16_e32 v79, v88, v79
	v_add_f16_e32 v88, v23, v30
	v_add_f16_e32 v108, v63, v70
	v_mul_f16_e32 v125, 0xbb29, v104
	v_sub_f16_e32 v90, v30, v23
	v_mul_f16_e32 v130, 0x3722, v108
	v_fma_f16 v89, v88, s23, -v125
	v_add_f16_e32 v37, v89, v37
	v_fma_f16 v89, v90, s26, v130
	v_mul_f16_e32 v135, 0xb1e1, v104
	v_add_f16_e32 v77, v89, v77
	v_mul_f16_e32 v140, 0xbbdd, v108
	v_fma_f16 v89, v88, s16, -v135
	v_add_f16_e32 v78, v89, v78
	v_fma_f16 v89, v90, s20, v140
	v_sub_f16_e32 v107, v71, v76
	v_add_f16_e32 v79, v89, v79
	v_add_f16_e32 v89, v36, v31
	;; [unrolled: 1-line block ×3, first 2 shown]
	v_mul_f16_e32 v129, 0xb836, v107
	v_sub_f16_e32 v92, v31, v36
	s_mov_b32 s28, 0xb836
	v_mul_f16_e32 v133, 0xbacd, v111
	v_fma_f16 v91, v89, s18, -v129
	v_add_f16_e32 v37, v91, v37
	v_fma_f16 v91, v92, s28, v133
	v_mul_f16_e32 v139, 0x3bf7, v107
	v_add_f16_e32 v77, v91, v77
	s_movk_i32 s36, 0x3bf7
	v_mul_f16_e32 v142, 0x2de8, v111
	v_fma_f16 v91, v89, s14, -v139
	v_add_f16_e32 v78, v91, v78
	v_fma_f16 v91, v92, s36, v142
	v_sub_f16_e32 v110, v72, v75
	v_add_f16_e32 v79, v91, v79
	v_add_f16_e32 v91, v35, v32
	;; [unrolled: 1-line block ×3, first 2 shown]
	s_mov_b32 s29, 0xb8d2
	v_mul_f16_e32 v134, 0x3a62, v110
	v_sub_f16_e32 v94, v32, v35
	s_movk_i32 s37, 0x3a62
	v_mul_f16_e32 v138, 0xb8d2, v113
	v_fma_f16 v93, v91, s29, -v134
	v_add_f16_e32 v37, v93, v37
	v_fma_f16 v93, v94, s37, v138
	v_mul_f16_e32 v143, 0xb5c8, v110
	v_add_f16_e32 v77, v93, v77
	s_mov_b32 s31, 0xb5c8
	v_mul_f16_e32 v145, 0x3b76, v113
	v_fma_f16 v93, v91, s22, -v143
	v_sub_f16_e32 v112, v73, v74
	v_add_f16_e32 v101, v93, v78
	v_fma_f16 v78, v94, s31, v145
	v_add_f16_e32 v93, v34, v33
	v_add_f16_e32 v114, v74, v73
	v_mul_f16_e32 v137, 0x3964, v112
	v_add_f16_e32 v105, v78, v79
	v_sub_f16_e32 v95, v33, v34
	v_mul_f16_e32 v141, 0x39e9, v114
	v_fma_f16 v78, v93, s21, -v137
	v_add_f16_e32 v78, v78, v37
	v_fma_f16 v37, v95, s30, v141
	s_mov_b32 s33, 0xba62
	v_mul_f16_e32 v144, 0xba62, v112
	v_mul_f16_e32 v146, 0xb8d2, v114
	v_add_f16_e32 v79, v37, v77
	v_fma_f16 v37, v93, s29, -v144
	v_fma_f16 v77, v95, s33, v146
	v_add_f16_e32 v37, v37, v101
	v_add_f16_e32 v77, v77, v105
	s_barrier
	s_and_saveexec_b64 s[4:5], s[0:1]
	s_cbranch_execz .LBB0_17
; %bb.16:
	v_mul_f16_e32 v147, 0x2de8, v80
	v_mul_f16_e32 v148, 0xbbf7, v81
	v_mul_f16_e32 v151, 0xbbdd, v82
	v_add_f16_e32 v115, v147, v115
	v_mul_f16_e32 v152, 0xb1e1, v83
	v_mul_f16_e32 v155, 0xb461, v84
	v_sub_f16_e32 v116, v116, v148
	v_add_f16_e32 v115, v25, v115
	v_add_f16_e32 v117, v151, v117
	v_mul_f16_e32 v156, 0x3bb2, v86
	v_mul_f16_e32 v159, 0x3b76, v85
	v_add_f16_e32 v116, v65, v116
	v_sub_f16_e32 v118, v118, v152
	v_add_f16_e32 v115, v117, v115
	v_add_f16_e32 v117, v155, v119
	v_mul_f16_e32 v160, 0x35c8, v87
	v_mul_f16_e32 v163, 0x3722, v88
	v_add_f16_e32 v116, v118, v116
	;; [unrolled: 6-line block ×3, first 2 shown]
	v_sub_f16_e32 v118, v126, v160
	v_add_f16_e32 v115, v117, v115
	v_add_f16_e32 v117, v163, v125
	v_mul_f16_e32 v149, 0xb461, v80
	v_mul_f16_e32 v168, 0xb836, v92
	;; [unrolled: 1-line block ×3, first 2 shown]
	v_add_f16_e32 v116, v118, v116
	v_sub_f16_e32 v118, v130, v164
	v_add_f16_e32 v115, v117, v115
	v_add_f16_e32 v117, v167, v129
	v_mul_f16_e32 v153, 0xbacd, v82
	v_mul_f16_e32 v172, 0x3a62, v94
	v_mul_f16_e32 v175, 0x39e9, v93
	v_add_f16_e32 v120, v149, v120
	v_add_f16_e32 v116, v118, v116
	v_sub_f16_e32 v118, v133, v168
	v_add_f16_e32 v115, v117, v115
	v_add_f16_e32 v117, v171, v134
	v_mul_f16_e32 v157, 0x39e9, v84
	v_mul_f16_e32 v176, 0x3964, v95
	v_add_f16_e32 v120, v25, v120
	v_add_f16_e32 v124, v153, v124
	;; [unrolled: 1-line block ×3, first 2 shown]
	v_sub_f16_e32 v118, v138, v172
	v_add_f16_e32 v115, v117, v115
	v_add_f16_e32 v117, v175, v137
	v_mul_f16_e32 v161, 0x3722, v85
	v_mul_f16_e32 v179, 0xba62, v81
	s_movk_i32 s35, 0x3b29
	v_add_f16_e32 v120, v124, v120
	v_add_f16_e32 v124, v157, v128
	v_add_f16_e32 v116, v118, v116
	v_sub_f16_e32 v118, v141, v176
	v_add_f16_e32 v115, v117, v115
	v_mul_f16_e32 v117, 0x3722, v98
	v_mul_f16_e32 v165, 0xbbdd, v88
	v_fma_f16 v101, v98, s29, v179
	v_mul_f16_e32 v180, 0x3bb2, v83
	v_add_f16_e32 v120, v124, v120
	v_add_f16_e32 v124, v161, v132
	;; [unrolled: 1-line block ×3, first 2 shown]
	v_fma_f16 v118, v81, s35, v117
	v_mul_f16_e32 v119, 0xb8d2, v100
	v_mul_f16_e32 v169, 0x2de8, v89
	v_add_f16_e32 v101, v65, v101
	v_fma_f16 v105, v100, s15, v180
	v_mul_f16_e32 v181, 0xb5c8, v86
	v_add_f16_e32 v120, v124, v120
	v_add_f16_e32 v124, v165, v135
	;; [unrolled: 1-line block ×3, first 2 shown]
	v_fma_f16 v121, v83, s37, v119
	v_mul_f16_e32 v150, 0xbbb2, v81
	v_mul_f16_e32 v173, 0x3b76, v91
	v_add_f16_e32 v101, v105, v101
	v_fma_f16 v105, v103, s22, v181
	v_mul_f16_e32 v182, 0xb836, v87
	v_add_f16_e32 v120, v124, v120
	v_add_f16_e32 v124, v169, v139
	;; [unrolled: 1-line block ×3, first 2 shown]
	v_mul_f16_e32 v121, 0xbbdd, v103
	v_mul_f16_e32 v154, 0x3836, v83
	;; [unrolled: 1-line block ×3, first 2 shown]
	v_add_f16_e32 v101, v105, v101
	v_fma_f16 v105, v106, s18, v182
	v_mul_f16_e32 v183, 0x3bf7, v90
	v_sub_f16_e32 v123, v123, v150
	v_add_f16_e32 v120, v124, v120
	v_add_f16_e32 v124, v173, v143
	v_fma_f16 v122, v86, s20, v121
	v_mul_f16_e32 v158, 0x3964, v86
	v_add_f16_e32 v101, v105, v101
	v_fma_f16 v105, v108, s14, v183
	v_mul_f16_e32 v184, 0xb964, v92
	v_add_f16_e32 v123, v65, v123
	v_sub_f16_e32 v127, v127, v154
	v_add_f16_e32 v120, v124, v120
	v_add_f16_e32 v124, v177, v144
	;; [unrolled: 1-line block ×3, first 2 shown]
	v_mul_f16_e32 v122, 0xb461, v106
	v_mul_f16_e32 v162, 0xbb29, v87
	v_add_f16_e32 v101, v105, v101
	v_fma_f16 v105, v111, s21, v184
	v_mul_f16_e32 v185, 0xb1e1, v94
	v_add_f16_e32 v123, v127, v123
	v_sub_f16_e32 v127, v131, v158
	v_add_f16_e32 v120, v124, v120
	v_fma_f16 v124, v87, s19, v122
	v_mul_f16_e32 v166, 0xb1e1, v90
	s_mov_b32 s34, 0xb964
	v_add_f16_e32 v101, v105, v101
	v_fma_f16 v105, v113, s16, v185
	v_mul_f16_e32 v186, 0x3b29, v95
	v_add_f16_e32 v123, v127, v123
	v_sub_f16_e32 v127, v136, v162
	v_add_f16_e32 v118, v124, v118
	v_mul_f16_e32 v124, 0x39e9, v108
	v_mul_f16_e32 v170, 0x3bf7, v92
	v_add_f16_e32 v101, v105, v101
	v_fma_f16 v105, v114, s23, v186
	v_mul_f16_e32 v187, 0xba62, v96
	v_add_f16_e32 v123, v127, v123
	v_sub_f16_e32 v127, v140, v166
	v_fma_f16 v125, v90, s34, v124
	v_mul_f16_e32 v174, 0xb5c8, v94
	v_add_f16_e32 v101, v105, v101
	v_fma_f16 v105, v80, s29, -v187
	v_mul_f16_e32 v188, 0x3bb2, v97
	v_add_f16_e32 v123, v127, v123
	v_sub_f16_e32 v127, v142, v170
	v_add_f16_e32 v118, v125, v118
	v_mul_f16_e32 v125, 0x3b76, v111
	v_mul_f16_e32 v178, 0xba62, v95
	v_add_f16_e32 v105, v25, v105
	v_fma_f16 v109, v82, s15, -v188
	v_mul_f16_e32 v189, 0xb5c8, v99
	v_add_f16_e32 v123, v127, v123
	v_sub_f16_e32 v127, v145, v174
	v_fma_f16 v126, v92, s27, v125
	v_add_f16_e32 v105, v109, v105
	v_fma_f16 v109, v84, s22, -v189
	v_mul_f16_e32 v190, 0xb836, v102
	v_add_f16_e32 v123, v127, v123
	v_sub_f16_e32 v127, v146, v178
	v_add_f16_e32 v118, v126, v118
	v_mul_f16_e32 v126, 0x2de8, v113
	v_add_f16_e32 v105, v109, v105
	v_fma_f16 v109, v85, s18, -v190
	v_mul_f16_e32 v191, 0x3bf7, v104
	v_add_f16_e32 v123, v127, v123
	v_fma_f16 v127, v94, s36, v126
	v_add_f16_e32 v105, v109, v105
	v_fma_f16 v109, v88, s14, -v191
	v_mul_f16_e32 v192, 0xb964, v107
	v_add_f16_e32 v118, v127, v118
	v_mul_f16_e32 v127, 0xbacd, v114
	v_add_f16_e32 v105, v109, v105
	v_fma_f16 v109, v89, s21, -v192
	v_mul_f16_e32 v193, 0xb1e1, v110
	v_fma_f16 v128, v95, s24, v127
	v_add_f16_e32 v105, v109, v105
	v_fma_f16 v109, v91, s16, -v193
	v_mul_f16_e32 v194, 0x3b29, v112
	v_add_f16_e32 v118, v128, v118
	v_mul_f16_e32 v128, 0xbb29, v96
	v_add_f16_e32 v105, v109, v105
	v_fma_f16 v109, v93, s23, -v194
	v_mul_f16_e32 v195, 0xb836, v81
	v_fma_f16 v129, v80, s23, v128
	v_mul_f16_e32 v130, 0xba62, v97
	v_add_f16_e32 v26, v26, v25
	v_add_f16_e32 v105, v109, v105
	v_fma_f16 v109, v98, s18, v195
	v_mul_f16_e32 v196, 0x3b29, v83
	v_add_f16_e32 v129, v25, v129
	v_fma_f16 v131, v82, s29, v130
	v_add_f16_e32 v26, v27, v26
	v_add_f16_e32 v109, v65, v109
	v_fma_f16 v197, v100, s23, v196
	v_add_f16_e32 v129, v131, v129
	v_mul_f16_e32 v131, 0x31e1, v99
	v_add_f16_e32 v26, v28, v26
	v_add_f16_e32 v109, v197, v109
	v_mul_f16_e32 v197, 0xbbf7, v86
	v_fma_f16 v132, v84, s16, v131
	v_add_f16_e32 v26, v29, v26
	v_fma_f16 v198, v103, s14, v197
	v_add_f16_e32 v129, v132, v129
	v_mul_f16_e32 v132, 0x3bb2, v102
	v_add_f16_e32 v26, v30, v26
	v_add_f16_e32 v109, v198, v109
	v_mul_f16_e32 v198, 0x3a62, v87
	v_fma_f16 v133, v85, s15, v132
	;; [unrolled: 8-line block ×6, first 2 shown]
	v_add_f16_e32 v17, v17, v23
	v_fma_f16 v23, v81, s26, v117
	v_fma_f16 v203, v114, s15, v202
	s_movk_i32 s38, 0x31e1
	v_add_f16_e32 v129, v137, v129
	v_mul_f16_e32 v137, 0x39e9, v98
	v_add_f16_e32 v23, v65, v23
	v_fma_f16 v24, v83, s33, v119
	v_add_f16_e32 v109, v203, v109
	v_mul_f16_e32 v203, 0xb836, v96
	v_fma_f16 v138, v81, s30, v137
	v_mul_f16_e32 v139, 0x2de8, v100
	v_add_f16_e32 v23, v24, v23
	v_fma_f16 v24, v86, s38, v121
	v_fma_f16 v204, v80, s18, -v203
	v_mul_f16_e32 v205, 0x3b29, v97
	v_add_f16_e32 v138, v65, v138
	v_fma_f16 v140, v83, s36, v139
	v_add_f16_e32 v23, v24, v23
	v_fma_f16 v24, v87, s25, v122
	v_add_f16_e32 v204, v25, v204
	v_fma_f16 v206, v82, s23, -v205
	v_add_f16_e32 v138, v140, v138
	v_mul_f16_e32 v140, 0xb8d2, v103
	v_add_f16_e32 v23, v24, v23
	v_fma_f16 v24, v90, s30, v124
	v_add_f16_e32 v204, v206, v204
	v_mul_f16_e32 v206, 0xbbf7, v99
	v_fma_f16 v141, v86, s37, v140
	v_add_f16_e32 v23, v24, v23
	v_fma_f16 v24, v92, s31, v125
	v_fma_f16 v207, v84, s14, -v206
	v_add_f16_e32 v138, v141, v138
	v_mul_f16_e32 v141, 0xbbdd, v106
	v_add_f16_e32 v23, v24, v23
	v_fma_f16 v24, v94, s17, v126
	v_add_f16_e32 v204, v207, v204
	v_mul_f16_e32 v207, 0x3a62, v102
	v_fma_f16 v142, v87, s38, v141
	v_add_f16_e32 v23, v24, v23
	v_fma_f16 v24, v95, s28, v127
	v_fma_f16 v208, v85, s29, -v207
	v_add_f16_e32 v138, v142, v138
	v_mul_f16_e32 v142, 0xbacd, v108
	v_add_f16_e32 v23, v24, v23
	v_fma_f16 v24, v80, s23, -v128
	v_add_f16_e32 v204, v208, v204
	v_mul_f16_e32 v208, 0xb5c8, v104
	v_fma_f16 v143, v90, s28, v142
	v_add_f16_e32 v24, v25, v24
	v_fma_f16 v26, v82, s29, -v130
	v_fma_f16 v209, v88, s22, -v208
	v_add_f16_e32 v138, v143, v138
	v_mul_f16_e32 v143, 0xb461, v111
	v_add_f16_e32 v24, v26, v24
	v_fma_f16 v26, v84, s16, -v131
	v_add_f16_e32 v204, v209, v204
	v_mul_f16_e32 v209, 0xb1e1, v107
	v_fma_f16 v144, v92, s19, v143
	v_add_f16_e32 v24, v26, v24
	v_fma_f16 v26, v85, s15, -v132
	;; [unrolled: 10-line block ×4, first 2 shown]
	v_fma_f16 v212, v93, s15, -v211
	v_add_f16_e32 v138, v146, v138
	v_mul_f16_e32 v146, 0xb964, v96
	v_add_f16_e32 v24, v26, v24
	v_fma_f16 v26, v81, s34, v137
	v_add_f16_e32 v204, v212, v204
	v_mul_f16_e32 v212, 0xb1e1, v81
	v_fma_f16 v147, v80, s21, v146
	v_mul_f16_e32 v148, 0xbbf7, v97
	v_add_f16_e32 v26, v65, v26
	v_fma_f16 v27, v83, s17, v139
	v_fma_f16 v213, v98, s16, v212
	v_mul_f16_e32 v214, 0x35c8, v83
	v_add_f16_e32 v147, v25, v147
	v_fma_f16 v149, v82, s14, v148
	v_add_f16_e32 v26, v27, v26
	v_fma_f16 v27, v86, s33, v140
	;; [unrolled: 2-line block ×3, first 2 shown]
	v_add_f16_e32 v147, v149, v147
	v_mul_f16_e32 v149, 0xba62, v99
	v_add_f16_e32 v26, v27, v26
	v_fma_f16 v27, v87, s20, v141
	v_add_f16_e32 v213, v215, v213
	v_mul_f16_e32 v215, 0xb836, v86
	v_fma_f16 v150, v84, s29, v149
	v_add_f16_e32 v26, v27, v26
	v_fma_f16 v27, v90, s24, v142
	v_fma_f16 v216, v103, s18, v215
	v_add_f16_e32 v147, v150, v147
	v_mul_f16_e32 v150, 0xb1e1, v102
	v_add_f16_e32 v26, v27, v26
	v_fma_f16 v27, v92, s25, v143
	v_add_f16_e32 v213, v216, v213
	v_mul_f16_e32 v216, 0x3964, v87
	v_fma_f16 v151, v85, s16, v150
	v_add_f16_e32 v26, v27, v26
	v_fma_f16 v27, v94, s35, v144
	v_fma_f16 v217, v106, s21, v216
	v_add_f16_e32 v147, v151, v147
	v_mul_f16_e32 v151, 0x3836, v104
	v_add_f16_e32 v26, v27, v26
	v_fma_f16 v27, v95, s27, v145
	v_add_f16_e32 v213, v217, v213
	v_mul_f16_e32 v217, 0xba62, v90
	v_fma_f16 v152, v88, s18, v151
	v_add_f16_e32 v26, v27, v26
	v_fma_f16 v27, v80, s21, -v146
	v_fma_f16 v218, v108, s29, v217
	v_add_f16_e32 v147, v152, v147
	v_mul_f16_e32 v152, 0x3bb2, v107
	v_add_f16_e32 v27, v25, v27
	v_fma_f16 v28, v82, s14, -v148
	v_add_f16_e32 v213, v218, v213
	v_mul_f16_e32 v218, 0x3b29, v92
	v_fma_f16 v153, v89, s15, v152
	v_add_f16_e32 v27, v28, v27
	v_fma_f16 v28, v84, s29, -v149
	v_fma_f16 v219, v111, s23, v218
	v_add_f16_e32 v147, v153, v147
	v_mul_f16_e32 v153, 0x3b29, v110
	v_add_f16_e32 v27, v28, v27
	v_fma_f16 v28, v85, s16, -v150
	v_add_f16_e32 v213, v219, v213
	v_mul_f16_e32 v219, 0xbbb2, v94
	v_fma_f16 v154, v91, s23, v153
	v_add_f16_e32 v27, v28, v27
	v_fma_f16 v28, v88, s18, -v151
	v_fma_f16 v220, v113, s15, v219
	v_add_f16_e32 v147, v154, v147
	v_mul_f16_e32 v154, 0x35c8, v112
	v_add_f16_e32 v27, v28, v27
	v_fma_f16 v28, v89, s15, -v152
	v_add_f16_e32 v213, v220, v213
	v_mul_f16_e32 v220, 0x3bf7, v95
	v_fma_f16 v212, v98, s16, -v212
	v_fma_f16 v195, v98, s18, -v195
	v_fma_f16 v179, v98, s29, -v179
	v_fma_f16 v155, v93, s22, v154
	v_mul_f16_e32 v98, 0x3b76, v98
	v_add_f16_e32 v27, v28, v27
	v_fma_f16 v28, v91, s23, -v153
	v_fma_f16 v221, v114, s14, v220
	v_add_f16_e32 v212, v65, v212
	v_fma_f16 v214, v100, s22, -v214
	v_add_f16_e32 v195, v65, v195
	v_fma_f16 v196, v100, s23, -v196
	;; [unrolled: 2-line block ×3, first 2 shown]
	v_add_f16_e32 v147, v155, v147
	v_fma_f16 v155, v81, s27, v98
	v_mul_f16_e32 v100, 0x39e9, v100
	v_add_f16_e32 v27, v28, v27
	v_fma_f16 v28, v93, s22, -v154
	v_add_f16_e32 v213, v221, v213
	v_mul_f16_e32 v221, 0xb1e1, v96
	v_add_f16_e32 v212, v214, v212
	v_fma_f16 v214, v103, s18, -v215
	v_add_f16_e32 v195, v196, v195
	v_fma_f16 v196, v103, s14, -v197
	;; [unrolled: 2-line block ×3, first 2 shown]
	v_add_f16_e32 v155, v65, v155
	v_fma_f16 v156, v83, s30, v100
	v_mul_f16_e32 v103, 0x3722, v103
	v_add_f16_e32 v17, v18, v17
	v_add_f16_e32 v18, v66, v65
	;; [unrolled: 1-line block ×3, first 2 shown]
	v_fma_f16 v28, v81, s31, v98
	v_fma_f16 v222, v80, s16, -v221
	v_mul_f16_e32 v223, 0x35c8, v97
	v_add_f16_e32 v212, v214, v212
	v_fma_f16 v214, v106, s21, -v216
	v_add_f16_e32 v195, v196, v195
	v_fma_f16 v196, v106, s29, -v198
	;; [unrolled: 2-line block ×3, first 2 shown]
	v_add_f16_e32 v155, v156, v155
	v_fma_f16 v156, v86, s35, v103
	v_mul_f16_e32 v106, 0x2de8, v106
	v_add_f16_e32 v18, v67, v18
	v_add_f16_e32 v28, v65, v28
	v_fma_f16 v29, v83, s34, v100
	v_add_f16_e32 v222, v25, v222
	v_fma_f16 v224, v82, s22, -v223
	v_add_f16_e32 v212, v214, v212
	v_fma_f16 v214, v108, s29, -v217
	;; [unrolled: 2-line block ×4, first 2 shown]
	v_add_f16_e32 v155, v156, v155
	v_fma_f16 v156, v87, s36, v106
	v_mul_f16_e32 v108, 0xb461, v108
	v_add_f16_e32 v18, v68, v18
	v_add_f16_e32 v28, v29, v28
	v_fma_f16 v29, v86, s26, v103
	v_add_f16_e32 v222, v224, v222
	v_mul_f16_e32 v224, 0xb836, v99
	v_add_f16_e32 v212, v214, v212
	v_fma_f16 v214, v111, s23, -v218
	v_add_f16_e32 v195, v196, v195
	v_fma_f16 v196, v111, s16, -v200
	v_add_f16_e32 v179, v180, v179
	v_fma_f16 v180, v111, s21, -v184
	v_add_f16_e32 v155, v156, v155
	v_fma_f16 v156, v90, s25, v108
	v_mul_f16_e32 v111, 0xb8d2, v111
	v_add_f16_e32 v18, v69, v18
	v_add_f16_e32 v28, v29, v28
	v_fma_f16 v29, v87, s17, v106
	v_fma_f16 v225, v84, s18, -v224
	v_add_f16_e32 v212, v214, v212
	v_fma_f16 v214, v113, s15, -v219
	v_add_f16_e32 v195, v196, v195
	;; [unrolled: 2-line block ×4, first 2 shown]
	v_fma_f16 v156, v92, s37, v111
	v_mul_f16_e32 v113, 0xbacd, v113
	v_add_f16_e32 v18, v70, v18
	v_add_f16_e32 v28, v29, v28
	v_fma_f16 v29, v90, s19, v108
	v_add_f16_e32 v222, v225, v222
	v_mul_f16_e32 v225, 0x3964, v102
	v_add_f16_e32 v212, v214, v212
	v_fma_f16 v214, v114, s14, -v220
	v_add_f16_e32 v195, v196, v195
	v_fma_f16 v196, v114, s15, -v202
	;; [unrolled: 2-line block ×3, first 2 shown]
	v_add_f16_e32 v155, v156, v155
	v_fma_f16 v156, v94, s24, v113
	v_mul_f16_e32 v114, 0xbbdd, v114
	v_add_f16_e32 v18, v71, v18
	v_add_f16_e32 v28, v29, v28
	v_fma_f16 v29, v92, s33, v111
	v_fma_f16 v226, v85, s21, -v225
	v_add_f16_e32 v155, v156, v155
	v_fma_f16 v156, v95, s38, v114
	v_mul_f16_e32 v96, 0xb5c8, v96
	v_add_f16_e32 v18, v72, v18
	v_add_f16_e32 v28, v29, v28
	v_fma_f16 v29, v94, s28, v113
	v_add_f16_e32 v222, v226, v222
	v_mul_f16_e32 v226, 0xba62, v104
	v_add_f16_e32 v155, v156, v155
	v_fma_f16 v156, v80, s22, v96
	v_mul_f16_e32 v97, 0xb964, v97
	v_add_f16_e32 v18, v73, v18
	v_add_f16_e32 v28, v29, v28
	v_fma_f16 v29, v95, s20, v114
	v_fma_f16 v227, v88, s29, -v226
	v_add_f16_e32 v212, v214, v212
	v_fma_f16 v214, v80, s16, v221
	v_add_f16_e32 v195, v196, v195
	v_fma_f16 v196, v80, s18, v203
	;; [unrolled: 2-line block ×4, first 2 shown]
	v_mul_f16_e32 v99, 0xbb29, v99
	v_add_f16_e32 v18, v74, v18
	v_add_f16_e32 v28, v29, v28
	v_fma_f16 v29, v80, s22, -v96
	v_add_f16_e32 v222, v227, v222
	v_mul_f16_e32 v227, 0x3b29, v107
	v_add_f16_e32 v214, v25, v214
	v_add_f16_e32 v196, v25, v196
	;; [unrolled: 1-line block ×4, first 2 shown]
	v_fma_f16 v157, v84, s23, v99
	v_mul_f16_e32 v102, 0xbbf7, v102
	v_add_f16_e32 v18, v75, v18
	v_add_f16_e32 v25, v25, v29
	v_fma_f16 v29, v82, s21, -v97
	v_fma_f16 v228, v89, s23, -v227
	v_add_f16_e32 v156, v157, v156
	v_fma_f16 v157, v85, s14, v102
	v_mul_f16_e32 v104, 0xbbb2, v104
	v_add_f16_e32 v18, v76, v18
	v_add_f16_e32 v25, v29, v25
	v_fma_f16 v29, v84, s23, -v99
	v_add_f16_e32 v222, v228, v222
	v_mul_f16_e32 v228, 0xbbb2, v110
	v_fma_f16 v197, v82, s23, v205
	v_fma_f16 v181, v82, s15, v188
	v_add_f16_e32 v156, v157, v156
	v_fma_f16 v157, v88, s15, v104
	v_mul_f16_e32 v107, 0xba62, v107
	v_add_f16_e32 v18, v63, v18
	v_add_f16_e32 v25, v29, v25
	v_fma_f16 v29, v85, s14, -v102
	v_fma_f16 v229, v91, s15, -v228
	v_fma_f16 v215, v82, s22, v223
	v_add_f16_e32 v196, v197, v196
	v_fma_f16 v197, v84, s14, v206
	v_add_f16_e32 v180, v181, v180
	;; [unrolled: 2-line block ×3, first 2 shown]
	v_fma_f16 v157, v89, s29, v107
	v_mul_f16_e32 v110, 0xb836, v110
	v_add_f16_e32 v18, v64, v18
	v_add_f16_e32 v25, v29, v25
	v_fma_f16 v29, v88, s15, -v104
	v_add_f16_e32 v222, v229, v222
	v_mul_f16_e32 v229, 0x3bf7, v112
	v_add_f16_e32 v214, v215, v214
	v_fma_f16 v215, v84, s18, v224
	v_add_f16_e32 v196, v197, v196
	v_fma_f16 v197, v85, s29, v207
	;; [unrolled: 2-line block ×4, first 2 shown]
	v_mul_f16_e32 v112, 0xb1e1, v112
	v_add_f16_e32 v18, v44, v18
	v_add_f16_e32 v25, v29, v25
	v_fma_f16 v29, v89, s29, -v107
	v_add_f16_e32 v214, v215, v214
	v_fma_f16 v215, v85, s21, v225
	v_add_f16_e32 v196, v197, v196
	v_fma_f16 v197, v88, s22, v208
	;; [unrolled: 2-line block ×4, first 2 shown]
	v_add_f16_e32 v18, v43, v18
	v_add_f16_e32 v25, v29, v25
	v_fma_f16 v29, v91, s18, -v110
	v_add_f16_e32 v214, v215, v214
	v_fma_f16 v215, v88, s29, v226
	v_add_f16_e32 v196, v197, v196
	v_fma_f16 v197, v89, s16, v209
	;; [unrolled: 2-line block ×3, first 2 shown]
	v_add_f16_e32 v156, v157, v156
	v_add_f16_e32 v17, v42, v17
	;; [unrolled: 1-line block ×4, first 2 shown]
	v_fma_f16 v29, v93, s16, -v112
	v_add_f16_e32 v214, v215, v214
	v_fma_f16 v215, v89, s23, v227
	v_add_f16_e32 v196, v197, v196
	v_fma_f16 v197, v91, s21, v210
	;; [unrolled: 2-line block ×3, first 2 shown]
	v_add_f16_e32 v25, v29, v25
	v_lshlrev_b32_e32 v29, 2, v41
	v_pack_b32_f16 v30, v156, v155
	v_pack_b32_f16 v17, v17, v18
	v_add_f16_e32 v214, v215, v214
	v_fma_f16 v215, v91, s15, v228
	v_add_f16_e32 v196, v197, v196
	v_fma_f16 v197, v93, s15, v211
	;; [unrolled: 2-line block ×3, first 2 shown]
	ds_write2_b32 v29, v17, v30 offset1:1
	v_pack_b32_f16 v17, v129, v118
	v_pack_b32_f16 v18, v147, v138
	v_fma_f16 v230, v93, s14, -v229
	v_add_f16_e32 v214, v215, v214
	v_fma_f16 v215, v93, s14, v229
	v_add_f16_e32 v196, v197, v196
	v_add_f16_e32 v180, v181, v180
	ds_write2_b32 v29, v18, v17 offset0:2 offset1:3
	v_pack_b32_f16 v17, v120, v123
	v_pack_b32_f16 v18, v115, v116
	v_add_f16_e32 v222, v230, v222
	v_add_f16_e32 v214, v215, v214
	ds_write2_b32 v29, v18, v17 offset0:4 offset1:5
	v_pack_b32_f16 v17, v196, v195
	v_pack_b32_f16 v18, v180, v179
	ds_write2_b32 v29, v18, v17 offset0:6 offset1:7
	v_pack_b32_f16 v17, v222, v213
	v_pack_b32_f16 v18, v214, v212
	;; [unrolled: 3-line block ×3, first 2 shown]
	s_mov_b32 s14, 0x5040100
	ds_write2_b32 v29, v18, v17 offset0:10 offset1:11
	v_perm_b32 v17, v79, v78, s14
	v_perm_b32 v18, v77, v37, s14
	ds_write2_b32 v29, v18, v17 offset0:12 offset1:13
	v_pack_b32_f16 v17, v27, v26
	v_pack_b32_f16 v18, v24, v23
	ds_write2_b32 v29, v18, v17 offset0:14 offset1:15
	v_pack_b32_f16 v17, v25, v28
	ds_write_b32 v29, v17 offset:64
.LBB0_17:
	s_or_b64 exec, exec, s[4:5]
	v_add_u32_e32 v23, 0xa00, v40
	s_waitcnt lgkmcnt(0)
	s_barrier
	ds_read2_b32 v[23:24], v23 offset0:74 offset1:193
	v_add_u32_e32 v41, 0xe00, v40
	v_add_u32_e32 v31, 0x1200, v40
	ds_read2_b32 v[27:28], v41 offset0:56 offset1:175
	ds_read2_b32 v[31:32], v31 offset0:38 offset1:157
	s_waitcnt lgkmcnt(2)
	v_lshrrev_b32_e32 v34, 16, v23
	v_mul_f16_sdwa v68, v48, v34 dst_sel:DWORD dst_unused:UNUSED_PAD src0_sel:WORD_1 src1_sel:DWORD
	v_lshrrev_b32_e32 v36, 16, v24
	v_fma_f16 v68, v48, v23, v68
	v_mul_f16_sdwa v23, v48, v23 dst_sel:DWORD dst_unused:UNUSED_PAD src0_sel:WORD_1 src1_sel:DWORD
	ds_read2_b32 v[17:18], v40 offset1:119
	v_add_u32_e32 v25, 0x200, v40
	v_fma_f16 v23, v48, v34, -v23
	v_mul_f16_sdwa v34, v49, v36 dst_sel:DWORD dst_unused:UNUSED_PAD src0_sel:WORD_1 src1_sel:DWORD
	ds_read2_b32 v[25:26], v25 offset0:110 offset1:229
	v_add_u32_e32 v43, 0x600, v40
	s_waitcnt lgkmcnt(3)
	v_lshrrev_b32_e32 v44, 16, v27
	s_waitcnt lgkmcnt(2)
	v_lshrrev_b32_e32 v65, 16, v31
	v_fma_f16 v34, v49, v24, v34
	v_mul_f16_sdwa v24, v49, v24 dst_sel:DWORD dst_unused:UNUSED_PAD src0_sel:WORD_1 src1_sel:DWORD
	ds_read2_b32 v[29:30], v43 offset0:92 offset1:211
	v_fma_f16 v24, v49, v36, -v24
	v_mul_f16_sdwa v36, v50, v44 dst_sel:DWORD dst_unused:UNUSED_PAD src0_sel:WORD_1 src1_sel:DWORD
	v_mul_f16_sdwa v48, v52, v65 dst_sel:DWORD dst_unused:UNUSED_PAD src0_sel:WORD_1 src1_sel:DWORD
	v_lshrrev_b32_e32 v63, 16, v28
	v_lshrrev_b32_e32 v67, 16, v32
	v_fma_f16 v36, v50, v27, v36
	v_mul_f16_sdwa v27, v50, v27 dst_sel:DWORD dst_unused:UNUSED_PAD src0_sel:WORD_1 src1_sel:DWORD
	v_fma_f16 v48, v52, v31, v48
	v_mul_f16_sdwa v31, v52, v31 dst_sel:DWORD dst_unused:UNUSED_PAD src0_sel:WORD_1 src1_sel:DWORD
	v_fma_f16 v27, v50, v44, -v27
	v_mul_f16_sdwa v44, v51, v63 dst_sel:DWORD dst_unused:UNUSED_PAD src0_sel:WORD_1 src1_sel:DWORD
	v_fma_f16 v49, v52, v65, -v31
	v_mul_f16_sdwa v31, v53, v67 dst_sel:DWORD dst_unused:UNUSED_PAD src0_sel:WORD_1 src1_sel:DWORD
	s_waitcnt lgkmcnt(2)
	v_lshrrev_b32_e32 v33, 16, v17
	v_fma_f16 v44, v51, v28, v44
	v_mul_f16_sdwa v28, v51, v28 dst_sel:DWORD dst_unused:UNUSED_PAD src0_sel:WORD_1 src1_sel:DWORD
	v_fma_f16 v50, v53, v32, v31
	v_mul_f16_sdwa v31, v53, v32 dst_sel:DWORD dst_unused:UNUSED_PAD src0_sel:WORD_1 src1_sel:DWORD
	v_lshrrev_b32_e32 v35, 16, v18
	s_waitcnt lgkmcnt(1)
	v_lshrrev_b32_e32 v42, 16, v25
	v_fma_f16 v28, v51, v63, -v28
	v_fma_f16 v51, v53, v67, -v31
	v_sub_f16_e32 v52, v17, v68
	v_sub_f16_e32 v53, v33, v23
	v_lshrrev_b32_e32 v45, 16, v26
	v_fma_f16 v63, v17, 2.0, -v52
	v_fma_f16 v65, v33, 2.0, -v53
	v_sub_f16_e32 v67, v18, v34
	v_sub_f16_e32 v68, v35, v24
	;; [unrolled: 1-line block ×4, first 2 shown]
	s_waitcnt lgkmcnt(0)
	v_sub_f16_e32 v23, v29, v48
	v_sub_f16_e32 v36, v30, v50
	v_lshrrev_b32_e32 v64, 16, v29
	v_lshrrev_b32_e32 v66, 16, v30
	v_fma_f16 v69, v18, 2.0, -v67
	v_fma_f16 v70, v35, 2.0, -v68
	;; [unrolled: 1-line block ×4, first 2 shown]
	v_sub_f16_e32 v17, v26, v44
	v_sub_f16_e32 v31, v45, v28
	v_fma_f16 v18, v29, 2.0, -v23
	v_fma_f16 v24, v30, 2.0, -v36
	v_pack_b32_f16 v29, v63, v65
	v_pack_b32_f16 v30, v52, v53
	v_fma_f16 v26, v26, 2.0, -v17
	v_fma_f16 v28, v45, 2.0, -v31
	v_sub_f16_e32 v32, v64, v49
	s_barrier
	ds_write2_b32 v54, v29, v30 offset1:17
	v_pack_b32_f16 v29, v69, v70
	v_pack_b32_f16 v30, v67, v68
	;; [unrolled: 1-line block ×4, first 2 shown]
	v_fma_f16 v33, v64, 2.0, -v32
	v_sub_f16_e32 v34, v66, v51
	ds_write2_b32 v55, v29, v30 offset1:17
	ds_write2_b32 v56, v25, v27 offset1:17
	v_pack_b32_f16 v25, v26, v28
	v_pack_b32_f16 v26, v17, v31
	v_fma_f16 v35, v66, 2.0, -v34
	ds_write2_b32 v57, v25, v26 offset1:17
	v_pack_b32_f16 v25, v18, v33
	v_pack_b32_f16 v26, v23, v32
	ds_write2_b32 v58, v25, v26 offset1:17
	v_pack_b32_f16 v25, v24, v35
	v_pack_b32_f16 v26, v36, v34
	v_add_u32_e32 v27, 0xc00, v40
	ds_write2_b32 v59, v25, v26 offset1:17
	s_waitcnt lgkmcnt(0)
	s_barrier
	ds_read2_b32 v[25:26], v40 offset1:204
	ds_read2_b32 v[29:30], v43 offset0:24 offset1:228
	ds_read2_b32 v[27:28], v27 offset0:48 offset1:252
	ds_read_b32 v42, v40 offset:4896
	s_and_saveexec_b64 s[4:5], s[2:3]
	s_cbranch_execz .LBB0_19
; %bb.18:
	v_add_u32_e32 v17, 0x180, v40
	v_add_u32_e32 v23, 0x800, v40
	ds_read2_b32 v[17:18], v17 offset0:23 offset1:227
	ds_read2_b32 v[23:24], v23 offset0:15 offset1:219
	ds_read2_b32 v[36:37], v41 offset0:39 offset1:243
	ds_read_b32 v78, v40 offset:5372
	s_waitcnt lgkmcnt(2)
	v_lshrrev_b32_e32 v32, 16, v23
	v_lshrrev_b32_e32 v31, 16, v17
	;; [unrolled: 1-line block ×4, first 2 shown]
	s_waitcnt lgkmcnt(1)
	v_lshrrev_b32_e32 v34, 16, v36
	v_lshrrev_b32_e32 v77, 16, v37
	s_waitcnt lgkmcnt(0)
	v_lshrrev_b32_e32 v79, 16, v78
.LBB0_19:
	s_or_b64 exec, exec, s[4:5]
	s_waitcnt lgkmcnt(3)
	v_lshrrev_b32_e32 v41, 16, v26
	v_mul_f16_sdwa v50, v4, v41 dst_sel:DWORD dst_unused:UNUSED_PAD src0_sel:WORD_1 src1_sel:DWORD
	s_waitcnt lgkmcnt(2)
	v_lshrrev_b32_e32 v43, 16, v29
	v_fma_f16 v50, v4, v26, v50
	v_mul_f16_sdwa v26, v4, v26 dst_sel:DWORD dst_unused:UNUSED_PAD src0_sel:WORD_1 src1_sel:DWORD
	v_fma_f16 v4, v4, v41, -v26
	v_mul_f16_sdwa v26, v5, v43 dst_sel:DWORD dst_unused:UNUSED_PAD src0_sel:WORD_1 src1_sel:DWORD
	v_lshrrev_b32_e32 v44, 16, v30
	v_fma_f16 v26, v5, v29, v26
	v_mul_f16_sdwa v29, v5, v29 dst_sel:DWORD dst_unused:UNUSED_PAD src0_sel:WORD_1 src1_sel:DWORD
	v_fma_f16 v5, v5, v43, -v29
	v_mul_f16_sdwa v29, v6, v44 dst_sel:DWORD dst_unused:UNUSED_PAD src0_sel:WORD_1 src1_sel:DWORD
	s_waitcnt lgkmcnt(1)
	v_lshrrev_b32_e32 v45, 16, v27
	v_fma_f16 v29, v6, v30, v29
	v_mul_f16_sdwa v30, v6, v30 dst_sel:DWORD dst_unused:UNUSED_PAD src0_sel:WORD_1 src1_sel:DWORD
	v_fma_f16 v6, v6, v44, -v30
	v_mul_f16_sdwa v30, v7, v45 dst_sel:DWORD dst_unused:UNUSED_PAD src0_sel:WORD_1 src1_sel:DWORD
	v_lshrrev_b32_e32 v48, 16, v28
	v_fma_f16 v30, v7, v27, v30
	v_mul_f16_sdwa v27, v7, v27 dst_sel:DWORD dst_unused:UNUSED_PAD src0_sel:WORD_1 src1_sel:DWORD
	v_fma_f16 v7, v7, v45, -v27
	v_mul_f16_sdwa v27, v21, v48 dst_sel:DWORD dst_unused:UNUSED_PAD src0_sel:WORD_1 src1_sel:DWORD
	s_waitcnt lgkmcnt(0)
	v_lshrrev_b32_e32 v49, 16, v42
	v_fma_f16 v27, v21, v28, v27
	v_mul_f16_sdwa v28, v21, v28 dst_sel:DWORD dst_unused:UNUSED_PAD src0_sel:WORD_1 src1_sel:DWORD
	v_fma_f16 v21, v21, v48, -v28
	v_mul_f16_sdwa v28, v22, v49 dst_sel:DWORD dst_unused:UNUSED_PAD src0_sel:WORD_1 src1_sel:DWORD
	v_mul_f16_sdwa v41, v22, v42 dst_sel:DWORD dst_unused:UNUSED_PAD src0_sel:WORD_1 src1_sel:DWORD
	v_fma_f16 v28, v22, v42, v28
	v_fma_f16 v22, v22, v49, -v41
	v_add_f16_e32 v41, v50, v28
	v_add_f16_e32 v42, v4, v22
	v_sub_f16_e32 v4, v4, v22
	v_add_f16_e32 v22, v26, v27
	v_add_f16_e32 v43, v5, v21
	v_sub_f16_e32 v28, v50, v28
	v_sub_f16_e32 v26, v26, v27
	;; [unrolled: 1-line block ×3, first 2 shown]
	v_add_f16_e32 v21, v29, v30
	v_add_f16_e32 v27, v6, v7
	v_sub_f16_e32 v29, v30, v29
	v_sub_f16_e32 v6, v7, v6
	v_add_f16_e32 v7, v22, v41
	v_add_f16_e32 v30, v43, v42
	v_sub_f16_e32 v44, v22, v41
	v_sub_f16_e32 v45, v43, v42
	;; [unrolled: 1-line block ×6, first 2 shown]
	v_add_f16_e32 v48, v29, v26
	v_add_f16_e32 v49, v6, v5
	v_sub_f16_e32 v50, v29, v26
	v_sub_f16_e32 v51, v6, v5
	;; [unrolled: 1-line block ×4, first 2 shown]
	v_add_f16_e32 v7, v21, v7
	v_add_f16_e32 v21, v27, v30
	v_sub_f16_e32 v29, v28, v29
	v_sub_f16_e32 v6, v4, v6
	v_add_f16_e32 v27, v48, v28
	v_add_f16_e32 v4, v49, v4
	;; [unrolled: 1-line block ×3, first 2 shown]
	v_add_f16_sdwa v25, v25, v21 dst_sel:DWORD dst_unused:UNUSED_PAD src0_sel:WORD_1 src1_sel:DWORD
	v_mul_f16_e32 v30, 0x3a52, v41
	v_mul_f16_e32 v41, 0x3a52, v42
	s_movk_i32 s19, 0x2b26
	v_mul_f16_e32 v42, 0x2b26, v22
	v_mul_f16_e32 v48, 0x2b26, v43
	;; [unrolled: 1-line block ×4, first 2 shown]
	s_mov_b32 s14, 0xbb00
	v_mul_f16_e32 v51, 0xbb00, v26
	v_mul_f16_e32 v52, 0xbb00, v5
	s_mov_b32 s20, 0xbcab
	s_movk_i32 s15, 0x39e0
	s_mov_b32 s16, 0xb9e0
	s_mov_b32 s21, 0xb574
	s_movk_i32 s17, 0x3574
	v_fma_f16 v7, v7, s20, v28
	v_fma_f16 v21, v21, s20, v25
	v_fma_f16 v22, v22, s19, v30
	v_fma_f16 v43, v43, s19, v41
	v_fma_f16 v42, v44, s15, -v42
	v_fma_f16 v48, v45, s15, -v48
	;; [unrolled: 1-line block ×4, first 2 shown]
	v_fma_f16 v44, v29, s21, v49
	v_fma_f16 v45, v6, s21, v50
	v_fma_f16 v26, v26, s14, -v49
	v_fma_f16 v5, v5, s14, -v50
	;; [unrolled: 1-line block ×4, first 2 shown]
	s_mov_b32 s18, 0xb70e
	v_add_f16_e32 v22, v22, v7
	v_add_f16_e32 v43, v43, v21
	;; [unrolled: 1-line block ×6, first 2 shown]
	v_fma_f16 v30, v27, s18, v44
	v_fma_f16 v41, v4, s18, v45
	;; [unrolled: 1-line block ×6, first 2 shown]
	v_add_f16_e32 v6, v41, v22
	v_sub_f16_e32 v29, v43, v30
	v_add_f16_e32 v44, v4, v7
	v_sub_f16_e32 v49, v42, v5
	v_add_f16_e32 v50, v26, v48
	v_add_f16_e32 v5, v5, v42
	v_sub_f16_e32 v26, v48, v26
	v_sub_f16_e32 v4, v7, v4
	v_add_f16_e32 v7, v27, v21
	v_sub_f16_e32 v45, v21, v27
	v_sub_f16_e32 v21, v22, v41
	v_add_f16_e32 v22, v30, v43
	v_pack_b32_f16 v25, v28, v25
	v_pack_b32_f16 v6, v6, v29
	;; [unrolled: 1-line block ×4, first 2 shown]
	s_barrier
	ds_write2_b32 v62, v25, v6 offset1:34
	v_pack_b32_f16 v6, v44, v45
	v_pack_b32_f16 v25, v49, v50
	ds_write2_b32 v62, v5, v4 offset0:136 offset1:170
	v_pack_b32_f16 v4, v21, v22
	ds_write2_b32 v62, v6, v25 offset0:68 offset1:102
	ds_write_b32 v62, v4 offset:816
	s_and_saveexec_b64 s[4:5], s[2:3]
	s_cbranch_execz .LBB0_21
; %bb.20:
	v_mul_f16_sdwa v21, v2, v35 dst_sel:DWORD dst_unused:UNUSED_PAD src0_sel:WORD_1 src1_sel:DWORD
	v_fma_f16 v21, v2, v24, v21
	v_mul_f16_sdwa v24, v2, v24 dst_sel:DWORD dst_unused:UNUSED_PAD src0_sel:WORD_1 src1_sel:DWORD
	v_mul_f16_sdwa v4, v0, v33 dst_sel:DWORD dst_unused:UNUSED_PAD src0_sel:WORD_1 src1_sel:DWORD
	;; [unrolled: 1-line block ×4, first 2 shown]
	v_fma_f16 v2, v2, v35, -v24
	v_mul_f16_sdwa v24, v3, v36 dst_sel:DWORD dst_unused:UNUSED_PAD src0_sel:WORD_1 src1_sel:DWORD
	v_fma_f16 v4, v0, v18, v4
	v_mul_f16_sdwa v5, v20, v79 dst_sel:DWORD dst_unused:UNUSED_PAD src0_sel:WORD_1 src1_sel:DWORD
	v_fma_f16 v7, v3, v36, v7
	v_fma_f16 v26, v1, v23, v26
	v_mul_f16_sdwa v27, v19, v77 dst_sel:DWORD dst_unused:UNUSED_PAD src0_sel:WORD_1 src1_sel:DWORD
	v_mul_f16_sdwa v41, v20, v78 dst_sel:DWORD dst_unused:UNUSED_PAD src0_sel:WORD_1 src1_sel:DWORD
	;; [unrolled: 1-line block ×3, first 2 shown]
	v_fma_f16 v3, v3, v34, -v24
	v_mul_f16_sdwa v34, v19, v37 dst_sel:DWORD dst_unused:UNUSED_PAD src0_sel:WORD_1 src1_sel:DWORD
	v_mul_f16_sdwa v23, v1, v23 dst_sel:DWORD dst_unused:UNUSED_PAD src0_sel:WORD_1 src1_sel:DWORD
	v_fma_f16 v5, v20, v78, v5
	v_fma_f16 v27, v19, v37, v27
	v_fma_f16 v20, v20, v79, -v41
	v_fma_f16 v0, v0, v33, -v18
	;; [unrolled: 1-line block ×4, first 2 shown]
	v_add_f16_e32 v18, v20, v0
	v_add_f16_e32 v24, v3, v2
	;; [unrolled: 1-line block ×3, first 2 shown]
	v_sub_f16_e32 v0, v0, v20
	v_sub_f16_e32 v2, v3, v2
	;; [unrolled: 1-line block ×6, first 2 shown]
	v_add_f16_e32 v4, v5, v4
	v_add_f16_e32 v5, v7, v21
	;; [unrolled: 1-line block ×3, first 2 shown]
	v_sub_f16_e32 v3, v0, v2
	v_sub_f16_e32 v19, v2, v1
	v_add_f16_e32 v2, v2, v1
	v_sub_f16_e32 v25, v6, v22
	v_sub_f16_e32 v29, v22, v28
	v_add_f16_e32 v22, v22, v28
	v_add_f16_e32 v35, v23, v18
	;; [unrolled: 1-line block ×4, first 2 shown]
	v_sub_f16_e32 v0, v1, v0
	v_add_f16_e32 v22, v22, v6
	v_sub_f16_e32 v33, v18, v24
	v_sub_f16_e32 v32, v24, v23
	v_add_f16_e32 v24, v24, v35
	v_sub_f16_e32 v7, v4, v5
	v_sub_f16_e32 v26, v5, v21
	v_add_f16_e32 v5, v5, v36
	v_mul_f16_e32 v19, 0x3846, v19
	v_sub_f16_e32 v6, v28, v6
	v_mul_f16_e32 v1, 0xbb00, v0
	v_mul_f16_e32 v29, 0x3846, v29
	;; [unrolled: 1-line block ×4, first 2 shown]
	v_add_f16_e32 v31, v31, v24
	v_mul_f16_e32 v7, 0x3a52, v7
	v_mul_f16_e32 v27, 0x2b26, v26
	v_add_f16_e32 v17, v17, v5
	v_fma_f16 v20, v3, s21, v19
	v_mul_f16_e32 v28, 0xbb00, v6
	v_sub_f16_e32 v18, v23, v18
	v_sub_f16_e32 v4, v21, v4
	v_fma_f16 v1, v3, s17, -v1
	v_fma_f16 v0, v0, s14, -v19
	v_fma_f16 v30, v25, s21, v29
	v_fma_f16 v24, v24, s20, v31
	;; [unrolled: 1-line block ×5, first 2 shown]
	v_fma_f16 v25, v25, s17, -v28
	v_fma_f16 v23, v18, s16, -v33
	;; [unrolled: 1-line block ×3, first 2 shown]
	v_fma_f16 v1, v2, s18, v1
	v_fma_f16 v18, v18, s15, -v34
	v_fma_f16 v6, v6, s14, -v29
	v_fma_f16 v0, v2, s18, v0
	v_fma_f16 v2, v4, s15, -v27
	v_fma_f16 v25, v22, s18, v25
	v_add_f16_e32 v23, v23, v24
	v_add_f16_e32 v7, v7, v5
	;; [unrolled: 1-line block ×3, first 2 shown]
	v_fma_f16 v6, v22, s18, v6
	v_add_f16_e32 v2, v2, v5
	v_fma_f16 v32, v32, s19, v33
	v_add_f16_e32 v26, v26, v5
	v_sub_f16_e32 v3, v7, v1
	v_sub_f16_e32 v21, v18, v6
	v_add_f16_e32 v4, v0, v2
	v_add_f16_e32 v5, v6, v18
	v_sub_f16_e32 v0, v2, v0
	v_sub_f16_e32 v2, v23, v25
	v_add_f16_e32 v1, v1, v7
	v_mul_u32_u24_e32 v18, 0xee, v46
	v_fma_f16 v30, v22, s18, v30
	v_add_f16_e32 v32, v32, v24
	v_add_f16_e32 v28, v25, v23
	v_add_lshl_u32 v18, v18, v47, 2
	v_pack_b32_f16 v1, v1, v2
	v_pack_b32_f16 v0, v0, v5
	v_add_f16_e32 v35, v30, v32
	v_sub_f16_e32 v36, v26, v20
	v_sub_f16_e32 v6, v32, v30
	v_add_f16_e32 v7, v20, v26
	ds_write2_b32 v18, v1, v0 offset0:68 offset1:102
	v_pack_b32_f16 v0, v4, v21
	v_pack_b32_f16 v1, v3, v28
	;; [unrolled: 1-line block ×4, first 2 shown]
	ds_write2_b32 v18, v0, v1 offset0:136 offset1:170
	v_pack_b32_f16 v0, v36, v35
	ds_write2_b32 v18, v17, v6 offset1:34
	ds_write_b32 v18, v0 offset:816
.LBB0_21:
	s_or_b64 exec, exec, s[4:5]
	v_add_u32_e32 v21, 0x200, v40
	s_waitcnt lgkmcnt(0)
	s_barrier
	ds_read2_b32 v[2:3], v21 offset0:110 offset1:229
	v_add_u32_e32 v23, 0x600, v40
	ds_read2_b32 v[4:5], v23 offset0:92 offset1:211
	v_add_u32_e32 v24, 0xa00, v40
	;; [unrolled: 2-line block ×3, first 2 shown]
	s_waitcnt lgkmcnt(2)
	v_lshrrev_b32_e32 v27, 16, v2
	ds_read2_b32 v[17:18], v25 offset0:56 offset1:175
	v_mul_f16_sdwa v41, v8, v27 dst_sel:DWORD dst_unused:UNUSED_PAD src0_sel:WORD_1 src1_sel:DWORD
	s_waitcnt lgkmcnt(2)
	v_lshrrev_b32_e32 v28, 16, v4
	v_fma_f16 v41, v8, v2, v41
	v_mul_f16_sdwa v2, v8, v2 dst_sel:DWORD dst_unused:UNUSED_PAD src0_sel:WORD_1 src1_sel:DWORD
	v_add_u32_e32 v26, 0x1200, v40
	v_fma_f16 v2, v8, v27, -v2
	v_mul_f16_sdwa v8, v9, v28 dst_sel:DWORD dst_unused:UNUSED_PAD src0_sel:WORD_1 src1_sel:DWORD
	ds_read2_b32 v[19:20], v26 offset0:38 offset1:157
	s_waitcnt lgkmcnt(2)
	v_lshrrev_b32_e32 v29, 16, v6
	v_fma_f16 v8, v9, v4, v8
	v_mul_f16_sdwa v4, v9, v4 dst_sel:DWORD dst_unused:UNUSED_PAD src0_sel:WORD_1 src1_sel:DWORD
	ds_read2_b32 v[0:1], v40 offset1:119
	v_fma_f16 v4, v9, v28, -v4
	v_mul_f16_sdwa v9, v10, v29 dst_sel:DWORD dst_unused:UNUSED_PAD src0_sel:WORD_1 src1_sel:DWORD
	s_waitcnt lgkmcnt(2)
	v_lshrrev_b32_e32 v30, 16, v17
	v_fma_f16 v9, v10, v6, v9
	v_mul_f16_sdwa v6, v10, v6 dst_sel:DWORD dst_unused:UNUSED_PAD src0_sel:WORD_1 src1_sel:DWORD
	v_fma_f16 v6, v10, v29, -v6
	v_mul_f16_sdwa v10, v11, v30 dst_sel:DWORD dst_unused:UNUSED_PAD src0_sel:WORD_1 src1_sel:DWORD
	v_fma_f16 v10, v11, v17, v10
	v_mul_f16_sdwa v17, v11, v17 dst_sel:DWORD dst_unused:UNUSED_PAD src0_sel:WORD_1 src1_sel:DWORD
	s_waitcnt lgkmcnt(1)
	v_lshrrev_b32_e32 v31, 16, v19
	v_fma_f16 v11, v11, v30, -v17
	v_add_f16_e32 v29, v8, v10
	s_waitcnt lgkmcnt(0)
	v_lshrrev_b32_e32 v22, 16, v0
	v_lshrrev_b32_e32 v33, 16, v3
	v_mul_f16_sdwa v17, v60, v31 dst_sel:DWORD dst_unused:UNUSED_PAD src0_sel:WORD_1 src1_sel:DWORD
	v_add_f16_e32 v28, v0, v8
	v_fma_f16 v0, v29, -0.5, v0
	v_sub_f16_e32 v29, v4, v11
	s_mov_b32 s2, 0xbaee
	s_movk_i32 s3, 0x3aee
	v_fma_f16 v17, v60, v19, v17
	v_mul_f16_sdwa v19, v60, v19 dst_sel:DWORD dst_unused:UNUSED_PAD src0_sel:WORD_1 src1_sel:DWORD
	v_mul_f16_sdwa v27, v12, v33 dst_sel:DWORD dst_unused:UNUSED_PAD src0_sel:WORD_1 src1_sel:DWORD
	v_fma_f16 v30, v29, s2, v0
	v_fma_f16 v0, v29, s3, v0
	v_add_f16_e32 v29, v22, v4
	v_lshrrev_b32_e32 v34, 16, v5
	v_fma_f16 v19, v60, v31, -v19
	v_fma_f16 v27, v12, v3, v27
	v_mul_f16_sdwa v3, v12, v3 dst_sel:DWORD dst_unused:UNUSED_PAD src0_sel:WORD_1 src1_sel:DWORD
	v_add_f16_e32 v29, v29, v11
	v_add_f16_e32 v4, v4, v11
	;; [unrolled: 1-line block ×3, first 2 shown]
	v_fma_f16 v3, v12, v33, -v3
	v_mul_f16_sdwa v12, v13, v34 dst_sel:DWORD dst_unused:UNUSED_PAD src0_sel:WORD_1 src1_sel:DWORD
	v_fma_f16 v4, v4, -0.5, v22
	v_fma_f16 v11, v11, -0.5, v41
	v_sub_f16_e32 v22, v6, v19
	v_lshrrev_b32_e32 v35, 16, v7
	v_fma_f16 v12, v13, v5, v12
	v_mul_f16_sdwa v5, v13, v5 dst_sel:DWORD dst_unused:UNUSED_PAD src0_sel:WORD_1 src1_sel:DWORD
	v_fma_f16 v31, v22, s2, v11
	v_fma_f16 v11, v22, s3, v11
	v_add_f16_e32 v22, v2, v6
	v_add_f16_e32 v6, v6, v19
	v_fma_f16 v5, v13, v34, -v5
	v_mul_f16_sdwa v13, v14, v35 dst_sel:DWORD dst_unused:UNUSED_PAD src0_sel:WORD_1 src1_sel:DWORD
	v_sub_f16_e32 v8, v8, v10
	v_fma_f16 v2, v6, -0.5, v2
	v_sub_f16_e32 v6, v9, v17
	v_lshrrev_b32_e32 v36, 16, v18
	v_fma_f16 v13, v14, v7, v13
	v_mul_f16_sdwa v7, v14, v7 dst_sel:DWORD dst_unused:UNUSED_PAD src0_sel:WORD_1 src1_sel:DWORD
	v_add_f16_e32 v28, v28, v10
	v_fma_f16 v10, v8, s3, v4
	v_fma_f16 v4, v8, s2, v4
	v_add_f16_e32 v8, v41, v9
	v_fma_f16 v9, v6, s3, v2
	v_fma_f16 v7, v14, v35, -v7
	v_mul_f16_sdwa v14, v15, v36 dst_sel:DWORD dst_unused:UNUSED_PAD src0_sel:WORD_1 src1_sel:DWORD
	v_add_f16_e32 v8, v8, v17
	v_fma_f16 v2, v6, s2, v2
	v_mul_f16_e32 v17, 0xbaee, v9
	v_mul_f16_e32 v9, 0.5, v9
	v_fma_f16 v14, v15, v18, v14
	v_mul_f16_sdwa v18, v15, v18 dst_sel:DWORD dst_unused:UNUSED_PAD src0_sel:WORD_1 src1_sel:DWORD
	v_mul_f16_e32 v33, 0xbaee, v2
	v_fma_f16 v9, v31, s3, v9
	v_mul_f16_e32 v2, -0.5, v2
	v_lshrrev_b32_e32 v37, 16, v20
	v_fma_f16 v15, v15, v36, -v18
	v_fma_f16 v17, v31, 0.5, v17
	v_add_f16_e32 v31, v10, v9
	v_fma_f16 v2, v11, s3, v2
	v_sub_f16_e32 v9, v10, v9
	v_add_f16_e32 v10, v12, v14
	v_lshrrev_b32_e32 v32, 16, v1
	v_mul_f16_sdwa v18, v61, v37 dst_sel:DWORD dst_unused:UNUSED_PAD src0_sel:WORD_1 src1_sel:DWORD
	v_fma_f16 v33, v11, -0.5, v33
	v_add_f16_e32 v11, v4, v2
	v_sub_f16_e32 v2, v4, v2
	v_add_f16_e32 v4, v1, v12
	v_fma_f16 v1, v10, -0.5, v1
	v_sub_f16_e32 v10, v5, v15
	v_fma_f16 v18, v61, v20, v18
	v_mul_f16_sdwa v20, v61, v20 dst_sel:DWORD dst_unused:UNUSED_PAD src0_sel:WORD_1 src1_sel:DWORD
	v_add_f16_e32 v6, v28, v8
	v_sub_f16_e32 v8, v28, v8
	v_fma_f16 v28, v10, s2, v1
	v_fma_f16 v1, v10, s3, v1
	v_add_f16_e32 v10, v32, v5
	v_add_f16_e32 v5, v5, v15
	v_fma_f16 v20, v61, v37, -v20
	v_add_f16_e32 v10, v10, v15
	v_fma_f16 v5, v5, -0.5, v32
	v_sub_f16_e32 v12, v12, v14
	v_add_f16_e32 v15, v13, v18
	v_add_f16_e32 v22, v22, v19
	v_add_f16_e32 v4, v4, v14
	v_fma_f16 v14, v12, s3, v5
	v_fma_f16 v5, v12, s2, v5
	v_add_f16_e32 v12, v27, v13
	v_fma_f16 v15, v15, -0.5, v27
	v_sub_f16_e32 v27, v7, v20
	v_add_f16_e32 v35, v29, v22
	v_sub_f16_e32 v22, v29, v22
	v_fma_f16 v29, v27, s2, v15
	v_fma_f16 v15, v27, s3, v15
	v_add_f16_e32 v27, v3, v7
	v_add_f16_e32 v7, v7, v20
	v_fma_f16 v3, v7, -0.5, v3
	v_sub_f16_e32 v7, v13, v18
	v_fma_f16 v13, v7, s3, v3
	v_fma_f16 v3, v7, s2, v3
	v_add_f16_e32 v19, v30, v17
	v_sub_f16_e32 v17, v30, v17
	v_add_f16_e32 v12, v12, v18
	v_add_f16_e32 v27, v27, v20
	v_mul_f16_e32 v18, 0xbaee, v13
	v_mul_f16_e32 v30, 0xbaee, v3
	v_mul_f16_e32 v13, 0.5, v13
	v_mul_f16_e32 v3, -0.5, v3
	v_add_f16_e32 v34, v0, v33
	v_sub_f16_e32 v0, v0, v33
	v_add_f16_e32 v7, v4, v12
	v_fma_f16 v18, v29, 0.5, v18
	v_add_f16_e32 v33, v10, v27
	v_fma_f16 v13, v29, s3, v13
	v_fma_f16 v3, v15, s3, v3
	v_add_f16_e32 v20, v28, v18
	v_fma_f16 v30, v15, -0.5, v30
	v_add_f16_e32 v29, v14, v13
	v_add_f16_e32 v15, v5, v3
	v_sub_f16_e32 v3, v5, v3
	v_pack_b32_f16 v5, v6, v35
	v_pack_b32_f16 v0, v0, v2
	;; [unrolled: 1-line block ×3, first 2 shown]
	v_add_f16_e32 v32, v1, v30
	v_pack_b32_f16 v6, v19, v31
	ds_write2_b32 v40, v5, v2 offset1:119
	v_pack_b32_f16 v2, v20, v29
	v_sub_f16_e32 v4, v4, v12
	v_sub_f16_e32 v10, v10, v27
	v_pack_b32_f16 v11, v34, v11
	ds_write2_b32 v21, v6, v2 offset0:110 offset1:229
	v_pack_b32_f16 v2, v32, v15
	v_sub_f16_e32 v12, v28, v18
	v_sub_f16_e32 v1, v1, v30
	;; [unrolled: 1-line block ×3, first 2 shown]
	v_pack_b32_f16 v8, v8, v22
	ds_write2_b32 v23, v11, v2 offset0:92 offset1:211
	v_pack_b32_f16 v2, v4, v10
	v_pack_b32_f16 v9, v17, v9
	ds_write2_b32 v24, v8, v2 offset0:74 offset1:193
	v_pack_b32_f16 v2, v12, v13
	v_pack_b32_f16 v1, v1, v3
	ds_write2_b32 v25, v9, v2 offset0:56 offset1:175
	ds_write2_b32 v26, v0, v1 offset0:38 offset1:157
	s_waitcnt lgkmcnt(0)
	s_barrier
	s_and_b64 exec, exec, s[0:1]
	s_cbranch_execz .LBB0_23
; %bb.22:
	global_load_dword v8, v38, s[6:7]
	v_mad_u64_u32 v[0:1], s[0:1], s10, v16, 0
	v_mov_b32_e32 v2, 0x7c00
	v_mad_u64_u32 v[3:4], s[0:1], s8, v39, 0
	v_mad_u64_u32 v[5:6], s[0:1], s11, v16, v[1:2]
	ds_read_b32 v9, v40
	s_mov_b32 s14, 0x16f26017
	v_mad_u64_u32 v[6:7], s[0:1], s9, v39, v[4:5]
	v_mov_b32_e32 v1, v5
	s_waitcnt lgkmcnt(0)
	v_lshrrev_b32_e32 v7, 16, v9
	v_mov_b32_e32 v4, v6
	v_lshlrev_b64 v[0:1], 2, v[0:1]
	s_mov_b32 s15, 0x3f46f260
	v_mov_b32_e32 v10, s13
	v_lshlrev_b64 v[3:4], 2, v[3:4]
	s_movk_i32 s16, 0x1ff
	s_movk_i32 s10, 0xffe
	s_movk_i32 s18, 0x40f
	s_mov_b32 s17, 0x8000
	s_waitcnt vmcnt(0)
	v_mul_f16_sdwa v5, v7, v8 dst_sel:DWORD dst_unused:UNUSED_PAD src0_sel:DWORD src1_sel:WORD_1
	v_fma_f16 v5, v9, v8, v5
	v_mul_f16_sdwa v6, v9, v8 dst_sel:DWORD dst_unused:UNUSED_PAD src0_sel:DWORD src1_sel:WORD_1
	v_cvt_f32_f16_e32 v5, v5
	v_fma_f16 v6, v8, v7, -v6
	v_cvt_f32_f16_e32 v7, v6
	v_add_co_u32_e32 v9, vcc, s12, v0
	v_cvt_f64_f32_e32 v[5:6], v5
	v_cvt_f64_f32_e32 v[7:8], v7
	v_addc_co_u32_e32 v10, vcc, v10, v1, vcc
	v_mul_f64 v[5:6], v[5:6], s[14:15]
	v_mul_f64 v[0:1], v[7:8], s[14:15]
	v_add_co_u32_e32 v3, vcc, v9, v3
	v_addc_co_u32_e32 v4, vcc, v10, v4, vcc
	v_and_or_b32 v5, v6, s16, v5
	v_and_or_b32 v0, v1, s16, v0
	v_cmp_ne_u32_e32 vcc, 0, v5
	v_lshrrev_b32_e32 v7, 8, v6
	v_bfe_u32 v8, v6, 20, 11
	v_cndmask_b32_e64 v5, 0, 1, vcc
	v_cmp_ne_u32_e32 vcc, 0, v0
	v_lshrrev_b32_e32 v9, 8, v1
	v_bfe_u32 v10, v1, 20, 11
	v_sub_u32_e32 v11, 0x3f1, v8
	v_cndmask_b32_e64 v0, 0, 1, vcc
	v_and_or_b32 v5, v7, s10, v5
	v_sub_u32_e32 v12, 0x3f1, v10
	v_med3_i32 v7, v11, 0, 13
	v_and_or_b32 v0, v9, s10, v0
	v_or_b32_e32 v11, 0x1000, v5
	v_add_u32_e32 v8, 0xfffffc10, v8
	v_med3_i32 v9, v12, 0, 13
	v_cmp_ne_u32_e32 vcc, 0, v5
	v_or_b32_e32 v13, 0x1000, v0
	v_lshrrev_b32_e32 v15, v7, v11
	v_add_u32_e32 v10, 0xfffffc10, v10
	v_lshl_or_b32 v12, v8, 12, v5
	v_cndmask_b32_e64 v5, 0, 1, vcc
	v_cmp_ne_u32_e32 vcc, 0, v0
	v_lshrrev_b32_e32 v16, v9, v13
	v_lshlrev_b32_e32 v7, v7, v15
	v_lshl_or_b32 v14, v10, 12, v0
	v_cndmask_b32_e64 v0, 0, 1, vcc
	v_lshlrev_b32_e32 v9, v9, v16
	v_cmp_ne_u32_e32 vcc, v7, v11
	v_cndmask_b32_e64 v7, 0, 1, vcc
	v_cmp_ne_u32_e32 vcc, v9, v13
	v_cndmask_b32_e64 v9, 0, 1, vcc
	v_or_b32_e32 v7, v15, v7
	v_cmp_gt_i32_e32 vcc, 1, v8
	v_cndmask_b32_e32 v7, v12, v7, vcc
	v_or_b32_e32 v9, v16, v9
	v_cmp_gt_i32_e32 vcc, 1, v10
	v_and_b32_e32 v11, 7, v7
	v_cndmask_b32_e32 v9, v14, v9, vcc
	v_cmp_lt_i32_e32 vcc, 5, v11
	v_cmp_eq_u32_e64 s[0:1], 3, v11
	v_lshrrev_b32_e32 v7, 2, v7
	v_and_b32_e32 v12, 7, v9
	s_or_b64 vcc, s[0:1], vcc
	v_cmp_lt_i32_e64 s[2:3], 5, v12
	v_cmp_eq_u32_e64 s[4:5], 3, v12
	v_addc_co_u32_e32 v7, vcc, 0, v7, vcc
	v_lshrrev_b32_e32 v9, 2, v9
	s_or_b64 vcc, s[4:5], s[2:3]
	v_addc_co_u32_e32 v9, vcc, 0, v9, vcc
	v_cmp_gt_i32_e32 vcc, 31, v8
	v_cndmask_b32_e32 v7, v2, v7, vcc
	v_cmp_gt_i32_e32 vcc, 31, v10
	v_lshl_or_b32 v5, v5, 9, v2
	v_cndmask_b32_e32 v9, v2, v9, vcc
	v_cmp_eq_u32_e32 vcc, s18, v8
	v_lshrrev_b32_e32 v6, 16, v6
	v_lshl_or_b32 v0, v0, 9, v2
	v_cndmask_b32_e32 v5, v7, v5, vcc
	v_cmp_eq_u32_e32 vcc, s18, v10
	v_lshrrev_b32_e32 v1, 16, v1
	v_cndmask_b32_e32 v0, v9, v0, vcc
	v_and_or_b32 v5, v6, s17, v5
	v_and_or_b32 v0, v1, s17, v0
	v_and_b32_e32 v1, 0xffff, v5
	v_lshl_or_b32 v0, v0, 16, v1
	global_store_dword v[3:4], v0, off
	global_load_dword v5, v38, s[6:7] offset:336
	ds_read2_b32 v[0:1], v38 offset0:84 offset1:168
	s_mul_i32 s0, s9, 0x150
	s_mul_hi_u32 s9, s8, 0x150
	s_mulk_i32 s8, 0x150
	s_add_i32 s9, s9, s0
	s_waitcnt lgkmcnt(0)
	v_lshrrev_b32_e32 v6, 16, v0
	v_add_co_u32_e32 v3, vcc, s8, v3
	s_waitcnt vmcnt(0)
	v_mul_f16_sdwa v7, v6, v5 dst_sel:DWORD dst_unused:UNUSED_PAD src0_sel:DWORD src1_sel:WORD_1
	v_fma_f16 v7, v0, v5, v7
	v_mul_f16_sdwa v0, v0, v5 dst_sel:DWORD dst_unused:UNUSED_PAD src0_sel:DWORD src1_sel:WORD_1
	v_cvt_f32_f16_e32 v7, v7
	v_fma_f16 v0, v5, v6, -v0
	v_cvt_f32_f16_e32 v0, v0
	v_cvt_f64_f32_e32 v[5:6], v7
	v_cvt_f64_f32_e32 v[7:8], v0
	v_mov_b32_e32 v0, s9
	v_mul_f64 v[5:6], v[5:6], s[14:15]
	v_addc_co_u32_e32 v4, vcc, v4, v0, vcc
	v_mul_f64 v[7:8], v[7:8], s[14:15]
	v_and_or_b32 v0, v6, s16, v5
	v_cmp_ne_u32_e32 vcc, 0, v0
	v_lshrrev_b32_e32 v5, 8, v6
	v_and_or_b32 v7, v8, s16, v7
	v_bfe_u32 v9, v6, 20, 11
	v_cndmask_b32_e64 v0, 0, 1, vcc
	v_cmp_ne_u32_e32 vcc, 0, v7
	v_lshrrev_b32_e32 v10, 8, v8
	v_bfe_u32 v11, v8, 20, 11
	v_sub_u32_e32 v12, 0x3f1, v9
	v_cndmask_b32_e64 v7, 0, 1, vcc
	v_and_or_b32 v0, v5, s10, v0
	v_sub_u32_e32 v13, 0x3f1, v11
	v_med3_i32 v5, v12, 0, 13
	v_and_or_b32 v7, v10, s10, v7
	v_or_b32_e32 v12, 0x1000, v0
	v_add_u32_e32 v9, 0xfffffc10, v9
	v_med3_i32 v10, v13, 0, 13
	v_cmp_ne_u32_e32 vcc, 0, v0
	v_or_b32_e32 v14, 0x1000, v7
	v_lshrrev_b32_e32 v16, v5, v12
	v_add_u32_e32 v11, 0xfffffc10, v11
	v_lshl_or_b32 v13, v9, 12, v0
	v_cndmask_b32_e64 v0, 0, 1, vcc
	v_cmp_ne_u32_e32 vcc, 0, v7
	v_lshrrev_b32_e32 v17, v10, v14
	v_lshlrev_b32_e32 v5, v5, v16
	v_lshl_or_b32 v15, v11, 12, v7
	v_cndmask_b32_e64 v7, 0, 1, vcc
	v_lshlrev_b32_e32 v10, v10, v17
	v_cmp_ne_u32_e32 vcc, v5, v12
	v_cndmask_b32_e64 v5, 0, 1, vcc
	v_cmp_ne_u32_e32 vcc, v10, v14
	v_cndmask_b32_e64 v10, 0, 1, vcc
	v_or_b32_e32 v5, v16, v5
	v_cmp_gt_i32_e32 vcc, 1, v9
	v_cndmask_b32_e32 v5, v13, v5, vcc
	v_or_b32_e32 v10, v17, v10
	v_cmp_gt_i32_e32 vcc, 1, v11
	v_and_b32_e32 v12, 7, v5
	v_cndmask_b32_e32 v10, v15, v10, vcc
	v_cmp_lt_i32_e32 vcc, 5, v12
	v_cmp_eq_u32_e64 s[0:1], 3, v12
	v_lshrrev_b32_e32 v5, 2, v5
	v_and_b32_e32 v13, 7, v10
	s_or_b64 vcc, s[0:1], vcc
	v_cmp_lt_i32_e64 s[2:3], 5, v13
	v_cmp_eq_u32_e64 s[4:5], 3, v13
	v_addc_co_u32_e32 v5, vcc, 0, v5, vcc
	v_lshrrev_b32_e32 v10, 2, v10
	s_or_b64 vcc, s[4:5], s[2:3]
	v_addc_co_u32_e32 v10, vcc, 0, v10, vcc
	v_cmp_gt_i32_e32 vcc, 31, v9
	v_cndmask_b32_e32 v5, v2, v5, vcc
	v_cmp_gt_i32_e32 vcc, 31, v11
	v_lshl_or_b32 v0, v0, 9, v2
	v_cndmask_b32_e32 v10, v2, v10, vcc
	v_cmp_eq_u32_e32 vcc, s18, v9
	v_lshrrev_b32_e32 v6, 16, v6
	v_lshl_or_b32 v7, v7, 9, v2
	v_cndmask_b32_e32 v0, v5, v0, vcc
	v_cmp_eq_u32_e32 vcc, s18, v11
	v_lshrrev_b32_e32 v8, 16, v8
	v_cndmask_b32_e32 v5, v10, v7, vcc
	v_and_or_b32 v0, v6, s17, v0
	v_and_or_b32 v5, v8, s17, v5
	v_and_b32_e32 v0, 0xffff, v0
	v_lshl_or_b32 v0, v5, 16, v0
	global_store_dword v[3:4], v0, off
	global_load_dword v0, v38, s[6:7] offset:672
	v_lshrrev_b32_e32 v5, 16, v1
	v_mov_b32_e32 v7, s9
	v_add_co_u32_e32 v3, vcc, s8, v3
	v_addc_co_u32_e32 v4, vcc, v4, v7, vcc
	s_waitcnt vmcnt(0)
	v_mul_f16_sdwa v6, v5, v0 dst_sel:DWORD dst_unused:UNUSED_PAD src0_sel:DWORD src1_sel:WORD_1
	v_fma_f16 v6, v1, v0, v6
	v_mul_f16_sdwa v1, v1, v0 dst_sel:DWORD dst_unused:UNUSED_PAD src0_sel:DWORD src1_sel:WORD_1
	v_cvt_f32_f16_e32 v6, v6
	v_fma_f16 v0, v0, v5, -v1
	v_cvt_f32_f16_e32 v5, v0
	v_cvt_f64_f32_e32 v[0:1], v6
	v_cvt_f64_f32_e32 v[5:6], v5
	v_mul_f64 v[0:1], v[0:1], s[14:15]
	v_mul_f64 v[5:6], v[5:6], s[14:15]
	v_and_or_b32 v0, v1, s16, v0
	v_cmp_ne_u32_e32 vcc, 0, v0
	v_and_or_b32 v5, v6, s16, v5
	v_lshrrev_b32_e32 v7, 8, v1
	v_bfe_u32 v8, v1, 20, 11
	v_cndmask_b32_e64 v0, 0, 1, vcc
	v_cmp_ne_u32_e32 vcc, 0, v5
	v_lshrrev_b32_e32 v9, 8, v6
	v_bfe_u32 v10, v6, 20, 11
	v_sub_u32_e32 v11, 0x3f1, v8
	v_cndmask_b32_e64 v5, 0, 1, vcc
	v_and_or_b32 v0, v7, s10, v0
	v_sub_u32_e32 v12, 0x3f1, v10
	v_med3_i32 v7, v11, 0, 13
	v_and_or_b32 v5, v9, s10, v5
	v_or_b32_e32 v11, 0x1000, v0
	v_add_u32_e32 v8, 0xfffffc10, v8
	v_med3_i32 v9, v12, 0, 13
	v_cmp_ne_u32_e32 vcc, 0, v0
	v_or_b32_e32 v13, 0x1000, v5
	v_lshrrev_b32_e32 v15, v7, v11
	v_add_u32_e32 v10, 0xfffffc10, v10
	v_lshl_or_b32 v12, v8, 12, v0
	v_cndmask_b32_e64 v0, 0, 1, vcc
	v_cmp_ne_u32_e32 vcc, 0, v5
	v_lshrrev_b32_e32 v16, v9, v13
	v_lshlrev_b32_e32 v7, v7, v15
	v_lshl_or_b32 v14, v10, 12, v5
	v_cndmask_b32_e64 v5, 0, 1, vcc
	v_lshlrev_b32_e32 v9, v9, v16
	v_cmp_ne_u32_e32 vcc, v7, v11
	v_cndmask_b32_e64 v7, 0, 1, vcc
	v_cmp_ne_u32_e32 vcc, v9, v13
	v_cndmask_b32_e64 v9, 0, 1, vcc
	v_or_b32_e32 v7, v15, v7
	v_cmp_gt_i32_e32 vcc, 1, v8
	v_cndmask_b32_e32 v7, v12, v7, vcc
	v_or_b32_e32 v9, v16, v9
	v_cmp_gt_i32_e32 vcc, 1, v10
	v_and_b32_e32 v11, 7, v7
	v_cndmask_b32_e32 v9, v14, v9, vcc
	v_cmp_lt_i32_e32 vcc, 5, v11
	v_cmp_eq_u32_e64 s[0:1], 3, v11
	v_lshrrev_b32_e32 v7, 2, v7
	v_and_b32_e32 v12, 7, v9
	s_or_b64 vcc, s[0:1], vcc
	v_cmp_lt_i32_e64 s[2:3], 5, v12
	v_cmp_eq_u32_e64 s[4:5], 3, v12
	v_addc_co_u32_e32 v7, vcc, 0, v7, vcc
	v_lshrrev_b32_e32 v9, 2, v9
	s_or_b64 vcc, s[4:5], s[2:3]
	v_addc_co_u32_e32 v9, vcc, 0, v9, vcc
	v_cmp_gt_i32_e32 vcc, 31, v8
	v_cndmask_b32_e32 v7, v2, v7, vcc
	v_cmp_gt_i32_e32 vcc, 31, v10
	v_lshl_or_b32 v0, v0, 9, v2
	v_cndmask_b32_e32 v9, v2, v9, vcc
	v_cmp_eq_u32_e32 vcc, s18, v8
	v_lshrrev_b32_e32 v1, 16, v1
	v_lshl_or_b32 v5, v5, 9, v2
	v_cndmask_b32_e32 v0, v7, v0, vcc
	v_cmp_eq_u32_e32 vcc, s18, v10
	v_lshrrev_b32_e32 v6, 16, v6
	v_cndmask_b32_e32 v5, v9, v5, vcc
	v_and_or_b32 v0, v1, s17, v0
	v_and_or_b32 v1, v6, s17, v5
	v_and_b32_e32 v0, 0xffff, v0
	v_lshl_or_b32 v0, v1, 16, v0
	global_store_dword v[3:4], v0, off
	global_load_dword v5, v38, s[6:7] offset:1008
	v_add_u32_e32 v0, 0x200, v38
	ds_read2_b32 v[0:1], v0 offset0:124 offset1:208
	v_add_co_u32_e32 v3, vcc, s8, v3
	s_waitcnt lgkmcnt(0)
	v_lshrrev_b32_e32 v6, 16, v0
	s_waitcnt vmcnt(0)
	v_mul_f16_sdwa v7, v6, v5 dst_sel:DWORD dst_unused:UNUSED_PAD src0_sel:DWORD src1_sel:WORD_1
	v_fma_f16 v7, v0, v5, v7
	v_mul_f16_sdwa v0, v0, v5 dst_sel:DWORD dst_unused:UNUSED_PAD src0_sel:DWORD src1_sel:WORD_1
	v_cvt_f32_f16_e32 v7, v7
	v_fma_f16 v0, v5, v6, -v0
	v_cvt_f32_f16_e32 v0, v0
	v_cvt_f64_f32_e32 v[5:6], v7
	v_cvt_f64_f32_e32 v[7:8], v0
	v_mov_b32_e32 v0, s9
	v_mul_f64 v[5:6], v[5:6], s[14:15]
	v_addc_co_u32_e32 v4, vcc, v4, v0, vcc
	v_mul_f64 v[7:8], v[7:8], s[14:15]
	v_and_or_b32 v0, v6, s16, v5
	v_cmp_ne_u32_e32 vcc, 0, v0
	v_lshrrev_b32_e32 v5, 8, v6
	v_and_or_b32 v7, v8, s16, v7
	v_bfe_u32 v9, v6, 20, 11
	v_cndmask_b32_e64 v0, 0, 1, vcc
	v_cmp_ne_u32_e32 vcc, 0, v7
	v_lshrrev_b32_e32 v10, 8, v8
	v_bfe_u32 v11, v8, 20, 11
	v_sub_u32_e32 v12, 0x3f1, v9
	v_cndmask_b32_e64 v7, 0, 1, vcc
	v_and_or_b32 v0, v5, s10, v0
	v_sub_u32_e32 v13, 0x3f1, v11
	v_med3_i32 v5, v12, 0, 13
	v_and_or_b32 v7, v10, s10, v7
	v_or_b32_e32 v12, 0x1000, v0
	v_add_u32_e32 v9, 0xfffffc10, v9
	v_med3_i32 v10, v13, 0, 13
	v_cmp_ne_u32_e32 vcc, 0, v0
	v_or_b32_e32 v14, 0x1000, v7
	v_lshrrev_b32_e32 v16, v5, v12
	v_add_u32_e32 v11, 0xfffffc10, v11
	v_lshl_or_b32 v13, v9, 12, v0
	v_cndmask_b32_e64 v0, 0, 1, vcc
	v_cmp_ne_u32_e32 vcc, 0, v7
	v_lshrrev_b32_e32 v17, v10, v14
	v_lshlrev_b32_e32 v5, v5, v16
	v_lshl_or_b32 v15, v11, 12, v7
	v_cndmask_b32_e64 v7, 0, 1, vcc
	v_lshlrev_b32_e32 v10, v10, v17
	v_cmp_ne_u32_e32 vcc, v5, v12
	v_cndmask_b32_e64 v5, 0, 1, vcc
	v_cmp_ne_u32_e32 vcc, v10, v14
	v_cndmask_b32_e64 v10, 0, 1, vcc
	v_or_b32_e32 v5, v16, v5
	v_cmp_gt_i32_e32 vcc, 1, v9
	v_cndmask_b32_e32 v5, v13, v5, vcc
	v_or_b32_e32 v10, v17, v10
	v_cmp_gt_i32_e32 vcc, 1, v11
	v_and_b32_e32 v12, 7, v5
	v_cndmask_b32_e32 v10, v15, v10, vcc
	v_cmp_lt_i32_e32 vcc, 5, v12
	v_cmp_eq_u32_e64 s[0:1], 3, v12
	v_lshrrev_b32_e32 v5, 2, v5
	v_and_b32_e32 v13, 7, v10
	s_or_b64 vcc, s[0:1], vcc
	v_cmp_lt_i32_e64 s[2:3], 5, v13
	v_cmp_eq_u32_e64 s[4:5], 3, v13
	v_addc_co_u32_e32 v5, vcc, 0, v5, vcc
	v_lshrrev_b32_e32 v10, 2, v10
	s_or_b64 vcc, s[4:5], s[2:3]
	v_addc_co_u32_e32 v10, vcc, 0, v10, vcc
	v_cmp_gt_i32_e32 vcc, 31, v9
	v_cndmask_b32_e32 v5, v2, v5, vcc
	v_cmp_gt_i32_e32 vcc, 31, v11
	v_lshl_or_b32 v0, v0, 9, v2
	v_cndmask_b32_e32 v10, v2, v10, vcc
	v_cmp_eq_u32_e32 vcc, s18, v9
	v_lshrrev_b32_e32 v6, 16, v6
	v_lshl_or_b32 v7, v7, 9, v2
	v_cndmask_b32_e32 v0, v5, v0, vcc
	v_cmp_eq_u32_e32 vcc, s18, v11
	v_lshrrev_b32_e32 v8, 16, v8
	v_cndmask_b32_e32 v5, v10, v7, vcc
	v_and_or_b32 v0, v6, s17, v0
	v_and_or_b32 v5, v8, s17, v5
	v_and_b32_e32 v0, 0xffff, v0
	v_lshl_or_b32 v0, v5, 16, v0
	global_store_dword v[3:4], v0, off
	global_load_dword v0, v38, s[6:7] offset:1344
	v_lshrrev_b32_e32 v5, 16, v1
	v_mov_b32_e32 v7, s9
	v_add_co_u32_e32 v3, vcc, s8, v3
	v_addc_co_u32_e32 v4, vcc, v4, v7, vcc
	s_waitcnt vmcnt(0)
	v_mul_f16_sdwa v6, v5, v0 dst_sel:DWORD dst_unused:UNUSED_PAD src0_sel:DWORD src1_sel:WORD_1
	v_fma_f16 v6, v1, v0, v6
	v_mul_f16_sdwa v1, v1, v0 dst_sel:DWORD dst_unused:UNUSED_PAD src0_sel:DWORD src1_sel:WORD_1
	v_cvt_f32_f16_e32 v6, v6
	v_fma_f16 v0, v0, v5, -v1
	v_cvt_f32_f16_e32 v5, v0
	v_cvt_f64_f32_e32 v[0:1], v6
	v_cvt_f64_f32_e32 v[5:6], v5
	v_mul_f64 v[0:1], v[0:1], s[14:15]
	v_mul_f64 v[5:6], v[5:6], s[14:15]
	v_and_or_b32 v0, v1, s16, v0
	v_cmp_ne_u32_e32 vcc, 0, v0
	v_and_or_b32 v5, v6, s16, v5
	v_lshrrev_b32_e32 v7, 8, v1
	v_bfe_u32 v8, v1, 20, 11
	v_cndmask_b32_e64 v0, 0, 1, vcc
	v_cmp_ne_u32_e32 vcc, 0, v5
	v_lshrrev_b32_e32 v9, 8, v6
	v_bfe_u32 v10, v6, 20, 11
	v_sub_u32_e32 v11, 0x3f1, v8
	v_cndmask_b32_e64 v5, 0, 1, vcc
	v_and_or_b32 v0, v7, s10, v0
	v_sub_u32_e32 v12, 0x3f1, v10
	v_med3_i32 v7, v11, 0, 13
	v_and_or_b32 v5, v9, s10, v5
	v_or_b32_e32 v11, 0x1000, v0
	v_add_u32_e32 v8, 0xfffffc10, v8
	v_med3_i32 v9, v12, 0, 13
	v_cmp_ne_u32_e32 vcc, 0, v0
	v_or_b32_e32 v13, 0x1000, v5
	v_lshrrev_b32_e32 v15, v7, v11
	v_add_u32_e32 v10, 0xfffffc10, v10
	v_lshl_or_b32 v12, v8, 12, v0
	v_cndmask_b32_e64 v0, 0, 1, vcc
	v_cmp_ne_u32_e32 vcc, 0, v5
	v_lshrrev_b32_e32 v16, v9, v13
	v_lshlrev_b32_e32 v7, v7, v15
	v_lshl_or_b32 v14, v10, 12, v5
	v_cndmask_b32_e64 v5, 0, 1, vcc
	v_lshlrev_b32_e32 v9, v9, v16
	v_cmp_ne_u32_e32 vcc, v7, v11
	v_cndmask_b32_e64 v7, 0, 1, vcc
	v_cmp_ne_u32_e32 vcc, v9, v13
	v_cndmask_b32_e64 v9, 0, 1, vcc
	v_or_b32_e32 v7, v15, v7
	v_cmp_gt_i32_e32 vcc, 1, v8
	v_cndmask_b32_e32 v7, v12, v7, vcc
	v_or_b32_e32 v9, v16, v9
	v_cmp_gt_i32_e32 vcc, 1, v10
	v_and_b32_e32 v11, 7, v7
	v_cndmask_b32_e32 v9, v14, v9, vcc
	v_cmp_lt_i32_e32 vcc, 5, v11
	v_cmp_eq_u32_e64 s[0:1], 3, v11
	v_lshrrev_b32_e32 v7, 2, v7
	v_and_b32_e32 v12, 7, v9
	s_or_b64 vcc, s[0:1], vcc
	v_cmp_lt_i32_e64 s[2:3], 5, v12
	v_cmp_eq_u32_e64 s[4:5], 3, v12
	v_addc_co_u32_e32 v7, vcc, 0, v7, vcc
	v_lshrrev_b32_e32 v9, 2, v9
	s_or_b64 vcc, s[4:5], s[2:3]
	v_addc_co_u32_e32 v9, vcc, 0, v9, vcc
	v_cmp_gt_i32_e32 vcc, 31, v8
	v_cndmask_b32_e32 v7, v2, v7, vcc
	v_cmp_gt_i32_e32 vcc, 31, v10
	v_lshl_or_b32 v0, v0, 9, v2
	v_cndmask_b32_e32 v9, v2, v9, vcc
	v_cmp_eq_u32_e32 vcc, s18, v8
	v_lshrrev_b32_e32 v1, 16, v1
	v_lshl_or_b32 v5, v5, 9, v2
	v_cndmask_b32_e32 v0, v7, v0, vcc
	v_cmp_eq_u32_e32 vcc, s18, v10
	v_lshrrev_b32_e32 v6, 16, v6
	v_cndmask_b32_e32 v5, v9, v5, vcc
	v_and_or_b32 v0, v1, s17, v0
	v_and_or_b32 v1, v6, s17, v5
	v_and_b32_e32 v0, 0xffff, v0
	v_lshl_or_b32 v0, v1, 16, v0
	global_store_dword v[3:4], v0, off
	global_load_dword v5, v38, s[6:7] offset:1680
	v_add_u32_e32 v0, 0x400, v38
	ds_read2_b32 v[0:1], v0 offset0:164 offset1:248
	v_add_co_u32_e32 v3, vcc, s8, v3
	s_waitcnt lgkmcnt(0)
	v_lshrrev_b32_e32 v6, 16, v0
	s_waitcnt vmcnt(0)
	v_mul_f16_sdwa v7, v6, v5 dst_sel:DWORD dst_unused:UNUSED_PAD src0_sel:DWORD src1_sel:WORD_1
	v_fma_f16 v7, v0, v5, v7
	v_mul_f16_sdwa v0, v0, v5 dst_sel:DWORD dst_unused:UNUSED_PAD src0_sel:DWORD src1_sel:WORD_1
	v_cvt_f32_f16_e32 v7, v7
	v_fma_f16 v0, v5, v6, -v0
	v_cvt_f32_f16_e32 v0, v0
	v_cvt_f64_f32_e32 v[5:6], v7
	v_cvt_f64_f32_e32 v[7:8], v0
	v_mov_b32_e32 v0, s9
	v_mul_f64 v[5:6], v[5:6], s[14:15]
	v_addc_co_u32_e32 v4, vcc, v4, v0, vcc
	v_mul_f64 v[7:8], v[7:8], s[14:15]
	v_and_or_b32 v0, v6, s16, v5
	v_cmp_ne_u32_e32 vcc, 0, v0
	v_lshrrev_b32_e32 v5, 8, v6
	v_and_or_b32 v7, v8, s16, v7
	v_bfe_u32 v9, v6, 20, 11
	v_cndmask_b32_e64 v0, 0, 1, vcc
	v_cmp_ne_u32_e32 vcc, 0, v7
	v_lshrrev_b32_e32 v10, 8, v8
	v_bfe_u32 v11, v8, 20, 11
	v_sub_u32_e32 v12, 0x3f1, v9
	v_cndmask_b32_e64 v7, 0, 1, vcc
	v_and_or_b32 v0, v5, s10, v0
	v_sub_u32_e32 v13, 0x3f1, v11
	v_med3_i32 v5, v12, 0, 13
	v_and_or_b32 v7, v10, s10, v7
	v_or_b32_e32 v12, 0x1000, v0
	v_add_u32_e32 v9, 0xfffffc10, v9
	v_med3_i32 v10, v13, 0, 13
	v_cmp_ne_u32_e32 vcc, 0, v0
	v_or_b32_e32 v14, 0x1000, v7
	v_lshrrev_b32_e32 v16, v5, v12
	v_add_u32_e32 v11, 0xfffffc10, v11
	v_lshl_or_b32 v13, v9, 12, v0
	v_cndmask_b32_e64 v0, 0, 1, vcc
	v_cmp_ne_u32_e32 vcc, 0, v7
	v_lshrrev_b32_e32 v17, v10, v14
	v_lshlrev_b32_e32 v5, v5, v16
	v_lshl_or_b32 v15, v11, 12, v7
	v_cndmask_b32_e64 v7, 0, 1, vcc
	v_lshlrev_b32_e32 v10, v10, v17
	v_cmp_ne_u32_e32 vcc, v5, v12
	v_cndmask_b32_e64 v5, 0, 1, vcc
	v_cmp_ne_u32_e32 vcc, v10, v14
	v_cndmask_b32_e64 v10, 0, 1, vcc
	v_or_b32_e32 v5, v16, v5
	v_cmp_gt_i32_e32 vcc, 1, v9
	v_cndmask_b32_e32 v5, v13, v5, vcc
	v_or_b32_e32 v10, v17, v10
	v_cmp_gt_i32_e32 vcc, 1, v11
	v_and_b32_e32 v12, 7, v5
	v_cndmask_b32_e32 v10, v15, v10, vcc
	v_cmp_lt_i32_e32 vcc, 5, v12
	v_cmp_eq_u32_e64 s[0:1], 3, v12
	v_lshrrev_b32_e32 v5, 2, v5
	v_and_b32_e32 v13, 7, v10
	s_or_b64 vcc, s[0:1], vcc
	v_cmp_lt_i32_e64 s[2:3], 5, v13
	v_cmp_eq_u32_e64 s[4:5], 3, v13
	v_addc_co_u32_e32 v5, vcc, 0, v5, vcc
	v_lshrrev_b32_e32 v10, 2, v10
	s_or_b64 vcc, s[4:5], s[2:3]
	v_addc_co_u32_e32 v10, vcc, 0, v10, vcc
	v_cmp_gt_i32_e32 vcc, 31, v9
	v_cndmask_b32_e32 v5, v2, v5, vcc
	v_cmp_gt_i32_e32 vcc, 31, v11
	v_lshl_or_b32 v0, v0, 9, v2
	v_cndmask_b32_e32 v10, v2, v10, vcc
	v_cmp_eq_u32_e32 vcc, s18, v9
	v_lshrrev_b32_e32 v6, 16, v6
	v_lshl_or_b32 v7, v7, 9, v2
	v_cndmask_b32_e32 v0, v5, v0, vcc
	v_cmp_eq_u32_e32 vcc, s18, v11
	v_lshrrev_b32_e32 v8, 16, v8
	v_cndmask_b32_e32 v5, v10, v7, vcc
	v_and_or_b32 v0, v6, s17, v0
	v_and_or_b32 v5, v8, s17, v5
	v_and_b32_e32 v0, 0xffff, v0
	v_lshl_or_b32 v0, v5, 16, v0
	global_store_dword v[3:4], v0, off
	global_load_dword v0, v38, s[6:7] offset:2016
	v_lshrrev_b32_e32 v5, 16, v1
	v_mov_b32_e32 v7, s9
	v_add_co_u32_e32 v3, vcc, s8, v3
	v_addc_co_u32_e32 v4, vcc, v4, v7, vcc
	s_waitcnt vmcnt(0)
	v_mul_f16_sdwa v6, v5, v0 dst_sel:DWORD dst_unused:UNUSED_PAD src0_sel:DWORD src1_sel:WORD_1
	v_fma_f16 v6, v1, v0, v6
	v_mul_f16_sdwa v1, v1, v0 dst_sel:DWORD dst_unused:UNUSED_PAD src0_sel:DWORD src1_sel:WORD_1
	v_cvt_f32_f16_e32 v6, v6
	v_fma_f16 v0, v0, v5, -v1
	v_cvt_f32_f16_e32 v5, v0
	v_cvt_f64_f32_e32 v[0:1], v6
	v_cvt_f64_f32_e32 v[5:6], v5
	v_mul_f64 v[0:1], v[0:1], s[14:15]
	v_mul_f64 v[5:6], v[5:6], s[14:15]
	v_and_or_b32 v0, v1, s16, v0
	v_cmp_ne_u32_e32 vcc, 0, v0
	v_and_or_b32 v5, v6, s16, v5
	v_lshrrev_b32_e32 v7, 8, v1
	v_bfe_u32 v8, v1, 20, 11
	v_cndmask_b32_e64 v0, 0, 1, vcc
	v_cmp_ne_u32_e32 vcc, 0, v5
	v_lshrrev_b32_e32 v9, 8, v6
	v_bfe_u32 v10, v6, 20, 11
	v_sub_u32_e32 v11, 0x3f1, v8
	v_cndmask_b32_e64 v5, 0, 1, vcc
	v_and_or_b32 v0, v7, s10, v0
	v_sub_u32_e32 v12, 0x3f1, v10
	v_med3_i32 v7, v11, 0, 13
	v_and_or_b32 v5, v9, s10, v5
	v_or_b32_e32 v11, 0x1000, v0
	v_add_u32_e32 v8, 0xfffffc10, v8
	v_med3_i32 v9, v12, 0, 13
	v_cmp_ne_u32_e32 vcc, 0, v0
	v_or_b32_e32 v13, 0x1000, v5
	v_lshrrev_b32_e32 v15, v7, v11
	v_add_u32_e32 v10, 0xfffffc10, v10
	v_lshl_or_b32 v12, v8, 12, v0
	v_cndmask_b32_e64 v0, 0, 1, vcc
	v_cmp_ne_u32_e32 vcc, 0, v5
	v_lshrrev_b32_e32 v16, v9, v13
	v_lshlrev_b32_e32 v7, v7, v15
	v_lshl_or_b32 v14, v10, 12, v5
	v_cndmask_b32_e64 v5, 0, 1, vcc
	v_lshlrev_b32_e32 v9, v9, v16
	v_cmp_ne_u32_e32 vcc, v7, v11
	v_cndmask_b32_e64 v7, 0, 1, vcc
	v_cmp_ne_u32_e32 vcc, v9, v13
	v_cndmask_b32_e64 v9, 0, 1, vcc
	v_or_b32_e32 v7, v15, v7
	v_cmp_gt_i32_e32 vcc, 1, v8
	v_cndmask_b32_e32 v7, v12, v7, vcc
	v_or_b32_e32 v9, v16, v9
	v_cmp_gt_i32_e32 vcc, 1, v10
	v_and_b32_e32 v11, 7, v7
	v_cndmask_b32_e32 v9, v14, v9, vcc
	v_cmp_lt_i32_e32 vcc, 5, v11
	v_cmp_eq_u32_e64 s[0:1], 3, v11
	v_lshrrev_b32_e32 v7, 2, v7
	v_and_b32_e32 v12, 7, v9
	s_or_b64 vcc, s[0:1], vcc
	v_cmp_lt_i32_e64 s[2:3], 5, v12
	v_cmp_eq_u32_e64 s[4:5], 3, v12
	v_addc_co_u32_e32 v7, vcc, 0, v7, vcc
	v_lshrrev_b32_e32 v9, 2, v9
	s_or_b64 vcc, s[4:5], s[2:3]
	v_addc_co_u32_e32 v9, vcc, 0, v9, vcc
	v_cmp_gt_i32_e32 vcc, 31, v8
	v_cndmask_b32_e32 v7, v2, v7, vcc
	v_cmp_gt_i32_e32 vcc, 31, v10
	v_lshl_or_b32 v0, v0, 9, v2
	v_cndmask_b32_e32 v9, v2, v9, vcc
	v_cmp_eq_u32_e32 vcc, s18, v8
	v_lshrrev_b32_e32 v1, 16, v1
	v_lshl_or_b32 v5, v5, 9, v2
	v_cndmask_b32_e32 v0, v7, v0, vcc
	v_cmp_eq_u32_e32 vcc, s18, v10
	v_lshrrev_b32_e32 v6, 16, v6
	v_cndmask_b32_e32 v5, v9, v5, vcc
	v_and_or_b32 v0, v1, s17, v0
	v_and_or_b32 v1, v6, s17, v5
	v_and_b32_e32 v0, 0xffff, v0
	v_lshl_or_b32 v0, v1, 16, v0
	global_store_dword v[3:4], v0, off
	global_load_dword v5, v38, s[6:7] offset:2352
	v_add_u32_e32 v0, 0x800, v38
	ds_read2_b32 v[0:1], v0 offset0:76 offset1:160
	v_add_co_u32_e32 v3, vcc, s8, v3
	s_waitcnt lgkmcnt(0)
	v_lshrrev_b32_e32 v6, 16, v0
	s_waitcnt vmcnt(0)
	v_mul_f16_sdwa v7, v6, v5 dst_sel:DWORD dst_unused:UNUSED_PAD src0_sel:DWORD src1_sel:WORD_1
	v_fma_f16 v7, v0, v5, v7
	v_mul_f16_sdwa v0, v0, v5 dst_sel:DWORD dst_unused:UNUSED_PAD src0_sel:DWORD src1_sel:WORD_1
	v_cvt_f32_f16_e32 v7, v7
	v_fma_f16 v0, v5, v6, -v0
	v_cvt_f32_f16_e32 v0, v0
	v_cvt_f64_f32_e32 v[5:6], v7
	v_cvt_f64_f32_e32 v[7:8], v0
	v_mov_b32_e32 v0, s9
	v_mul_f64 v[5:6], v[5:6], s[14:15]
	v_addc_co_u32_e32 v4, vcc, v4, v0, vcc
	v_mul_f64 v[7:8], v[7:8], s[14:15]
	v_and_or_b32 v0, v6, s16, v5
	v_cmp_ne_u32_e32 vcc, 0, v0
	v_lshrrev_b32_e32 v5, 8, v6
	v_and_or_b32 v7, v8, s16, v7
	v_bfe_u32 v9, v6, 20, 11
	v_cndmask_b32_e64 v0, 0, 1, vcc
	v_cmp_ne_u32_e32 vcc, 0, v7
	v_lshrrev_b32_e32 v10, 8, v8
	v_bfe_u32 v11, v8, 20, 11
	v_sub_u32_e32 v12, 0x3f1, v9
	v_cndmask_b32_e64 v7, 0, 1, vcc
	v_and_or_b32 v0, v5, s10, v0
	v_sub_u32_e32 v13, 0x3f1, v11
	v_med3_i32 v5, v12, 0, 13
	v_and_or_b32 v7, v10, s10, v7
	v_or_b32_e32 v12, 0x1000, v0
	v_add_u32_e32 v9, 0xfffffc10, v9
	v_med3_i32 v10, v13, 0, 13
	v_cmp_ne_u32_e32 vcc, 0, v0
	v_or_b32_e32 v14, 0x1000, v7
	v_lshrrev_b32_e32 v16, v5, v12
	v_add_u32_e32 v11, 0xfffffc10, v11
	v_lshl_or_b32 v13, v9, 12, v0
	v_cndmask_b32_e64 v0, 0, 1, vcc
	v_cmp_ne_u32_e32 vcc, 0, v7
	v_lshrrev_b32_e32 v17, v10, v14
	v_lshlrev_b32_e32 v5, v5, v16
	v_lshl_or_b32 v15, v11, 12, v7
	v_cndmask_b32_e64 v7, 0, 1, vcc
	v_lshlrev_b32_e32 v10, v10, v17
	v_cmp_ne_u32_e32 vcc, v5, v12
	v_cndmask_b32_e64 v5, 0, 1, vcc
	v_cmp_ne_u32_e32 vcc, v10, v14
	v_cndmask_b32_e64 v10, 0, 1, vcc
	v_or_b32_e32 v5, v16, v5
	v_cmp_gt_i32_e32 vcc, 1, v9
	v_cndmask_b32_e32 v5, v13, v5, vcc
	v_or_b32_e32 v10, v17, v10
	v_cmp_gt_i32_e32 vcc, 1, v11
	v_and_b32_e32 v12, 7, v5
	v_cndmask_b32_e32 v10, v15, v10, vcc
	v_cmp_lt_i32_e32 vcc, 5, v12
	v_cmp_eq_u32_e64 s[0:1], 3, v12
	v_lshrrev_b32_e32 v5, 2, v5
	v_and_b32_e32 v13, 7, v10
	s_or_b64 vcc, s[0:1], vcc
	v_cmp_lt_i32_e64 s[2:3], 5, v13
	v_cmp_eq_u32_e64 s[4:5], 3, v13
	v_addc_co_u32_e32 v5, vcc, 0, v5, vcc
	v_lshrrev_b32_e32 v10, 2, v10
	s_or_b64 vcc, s[4:5], s[2:3]
	v_addc_co_u32_e32 v10, vcc, 0, v10, vcc
	v_cmp_gt_i32_e32 vcc, 31, v9
	v_cndmask_b32_e32 v5, v2, v5, vcc
	v_cmp_gt_i32_e32 vcc, 31, v11
	v_lshl_or_b32 v0, v0, 9, v2
	v_cndmask_b32_e32 v10, v2, v10, vcc
	v_cmp_eq_u32_e32 vcc, s18, v9
	v_lshrrev_b32_e32 v6, 16, v6
	v_lshl_or_b32 v7, v7, 9, v2
	v_cndmask_b32_e32 v0, v5, v0, vcc
	v_cmp_eq_u32_e32 vcc, s18, v11
	v_lshrrev_b32_e32 v8, 16, v8
	v_cndmask_b32_e32 v5, v10, v7, vcc
	v_and_or_b32 v0, v6, s17, v0
	v_and_or_b32 v5, v8, s17, v5
	v_and_b32_e32 v0, 0xffff, v0
	v_lshl_or_b32 v0, v5, 16, v0
	global_store_dword v[3:4], v0, off
	global_load_dword v0, v38, s[6:7] offset:2688
	v_lshrrev_b32_e32 v5, 16, v1
	v_mov_b32_e32 v7, s9
	v_add_co_u32_e32 v3, vcc, s8, v3
	v_addc_co_u32_e32 v4, vcc, v4, v7, vcc
	s_waitcnt vmcnt(0)
	v_mul_f16_sdwa v6, v5, v0 dst_sel:DWORD dst_unused:UNUSED_PAD src0_sel:DWORD src1_sel:WORD_1
	v_fma_f16 v6, v1, v0, v6
	v_mul_f16_sdwa v1, v1, v0 dst_sel:DWORD dst_unused:UNUSED_PAD src0_sel:DWORD src1_sel:WORD_1
	v_cvt_f32_f16_e32 v6, v6
	v_fma_f16 v0, v0, v5, -v1
	v_cvt_f32_f16_e32 v5, v0
	v_cvt_f64_f32_e32 v[0:1], v6
	v_cvt_f64_f32_e32 v[5:6], v5
	v_mul_f64 v[0:1], v[0:1], s[14:15]
	v_mul_f64 v[5:6], v[5:6], s[14:15]
	v_and_or_b32 v0, v1, s16, v0
	v_cmp_ne_u32_e32 vcc, 0, v0
	v_and_or_b32 v5, v6, s16, v5
	v_lshrrev_b32_e32 v7, 8, v1
	v_bfe_u32 v8, v1, 20, 11
	v_cndmask_b32_e64 v0, 0, 1, vcc
	v_cmp_ne_u32_e32 vcc, 0, v5
	v_lshrrev_b32_e32 v9, 8, v6
	v_bfe_u32 v10, v6, 20, 11
	v_sub_u32_e32 v11, 0x3f1, v8
	v_cndmask_b32_e64 v5, 0, 1, vcc
	v_and_or_b32 v0, v7, s10, v0
	v_sub_u32_e32 v12, 0x3f1, v10
	v_med3_i32 v7, v11, 0, 13
	v_and_or_b32 v5, v9, s10, v5
	v_or_b32_e32 v11, 0x1000, v0
	v_add_u32_e32 v8, 0xfffffc10, v8
	v_med3_i32 v9, v12, 0, 13
	v_cmp_ne_u32_e32 vcc, 0, v0
	v_or_b32_e32 v13, 0x1000, v5
	v_lshrrev_b32_e32 v15, v7, v11
	v_add_u32_e32 v10, 0xfffffc10, v10
	v_lshl_or_b32 v12, v8, 12, v0
	v_cndmask_b32_e64 v0, 0, 1, vcc
	v_cmp_ne_u32_e32 vcc, 0, v5
	v_lshrrev_b32_e32 v16, v9, v13
	v_lshlrev_b32_e32 v7, v7, v15
	v_lshl_or_b32 v14, v10, 12, v5
	v_cndmask_b32_e64 v5, 0, 1, vcc
	v_lshlrev_b32_e32 v9, v9, v16
	v_cmp_ne_u32_e32 vcc, v7, v11
	v_cndmask_b32_e64 v7, 0, 1, vcc
	v_cmp_ne_u32_e32 vcc, v9, v13
	v_cndmask_b32_e64 v9, 0, 1, vcc
	v_or_b32_e32 v7, v15, v7
	v_cmp_gt_i32_e32 vcc, 1, v8
	v_cndmask_b32_e32 v7, v12, v7, vcc
	v_or_b32_e32 v9, v16, v9
	v_cmp_gt_i32_e32 vcc, 1, v10
	v_and_b32_e32 v11, 7, v7
	v_cndmask_b32_e32 v9, v14, v9, vcc
	v_cmp_lt_i32_e32 vcc, 5, v11
	v_cmp_eq_u32_e64 s[0:1], 3, v11
	v_lshrrev_b32_e32 v7, 2, v7
	v_and_b32_e32 v12, 7, v9
	s_or_b64 vcc, s[0:1], vcc
	v_cmp_lt_i32_e64 s[2:3], 5, v12
	v_cmp_eq_u32_e64 s[4:5], 3, v12
	v_addc_co_u32_e32 v7, vcc, 0, v7, vcc
	v_lshrrev_b32_e32 v9, 2, v9
	s_or_b64 vcc, s[4:5], s[2:3]
	v_addc_co_u32_e32 v9, vcc, 0, v9, vcc
	v_cmp_gt_i32_e32 vcc, 31, v8
	v_cndmask_b32_e32 v7, v2, v7, vcc
	v_cmp_gt_i32_e32 vcc, 31, v10
	v_lshl_or_b32 v0, v0, 9, v2
	v_cndmask_b32_e32 v9, v2, v9, vcc
	v_cmp_eq_u32_e32 vcc, s18, v8
	v_lshrrev_b32_e32 v1, 16, v1
	v_lshl_or_b32 v5, v5, 9, v2
	v_cndmask_b32_e32 v0, v7, v0, vcc
	v_cmp_eq_u32_e32 vcc, s18, v10
	v_lshrrev_b32_e32 v6, 16, v6
	v_cndmask_b32_e32 v5, v9, v5, vcc
	v_and_or_b32 v0, v1, s17, v0
	v_and_or_b32 v1, v6, s17, v5
	v_and_b32_e32 v0, 0xffff, v0
	v_lshl_or_b32 v0, v1, 16, v0
	global_store_dword v[3:4], v0, off
	global_load_dword v5, v38, s[6:7] offset:3024
	v_add_u32_e32 v0, 0xa00, v38
	ds_read2_b32 v[0:1], v0 offset0:116 offset1:200
	v_add_co_u32_e32 v3, vcc, s8, v3
	s_waitcnt lgkmcnt(0)
	v_lshrrev_b32_e32 v6, 16, v0
	s_waitcnt vmcnt(0)
	v_mul_f16_sdwa v7, v6, v5 dst_sel:DWORD dst_unused:UNUSED_PAD src0_sel:DWORD src1_sel:WORD_1
	v_fma_f16 v7, v0, v5, v7
	v_mul_f16_sdwa v0, v0, v5 dst_sel:DWORD dst_unused:UNUSED_PAD src0_sel:DWORD src1_sel:WORD_1
	v_cvt_f32_f16_e32 v7, v7
	v_fma_f16 v0, v5, v6, -v0
	v_cvt_f32_f16_e32 v0, v0
	v_cvt_f64_f32_e32 v[5:6], v7
	v_cvt_f64_f32_e32 v[7:8], v0
	v_mov_b32_e32 v0, s9
	v_mul_f64 v[5:6], v[5:6], s[14:15]
	v_addc_co_u32_e32 v4, vcc, v4, v0, vcc
	v_mul_f64 v[7:8], v[7:8], s[14:15]
	v_and_or_b32 v0, v6, s16, v5
	v_cmp_ne_u32_e32 vcc, 0, v0
	v_lshrrev_b32_e32 v5, 8, v6
	v_and_or_b32 v7, v8, s16, v7
	v_bfe_u32 v9, v6, 20, 11
	v_cndmask_b32_e64 v0, 0, 1, vcc
	v_cmp_ne_u32_e32 vcc, 0, v7
	v_lshrrev_b32_e32 v10, 8, v8
	v_bfe_u32 v11, v8, 20, 11
	v_sub_u32_e32 v12, 0x3f1, v9
	v_cndmask_b32_e64 v7, 0, 1, vcc
	v_and_or_b32 v0, v5, s10, v0
	v_sub_u32_e32 v13, 0x3f1, v11
	v_med3_i32 v5, v12, 0, 13
	v_and_or_b32 v7, v10, s10, v7
	v_or_b32_e32 v12, 0x1000, v0
	v_add_u32_e32 v9, 0xfffffc10, v9
	v_med3_i32 v10, v13, 0, 13
	v_cmp_ne_u32_e32 vcc, 0, v0
	v_or_b32_e32 v14, 0x1000, v7
	v_lshrrev_b32_e32 v16, v5, v12
	v_add_u32_e32 v11, 0xfffffc10, v11
	v_lshl_or_b32 v13, v9, 12, v0
	v_cndmask_b32_e64 v0, 0, 1, vcc
	v_cmp_ne_u32_e32 vcc, 0, v7
	v_lshrrev_b32_e32 v17, v10, v14
	v_lshlrev_b32_e32 v5, v5, v16
	v_lshl_or_b32 v15, v11, 12, v7
	v_cndmask_b32_e64 v7, 0, 1, vcc
	v_lshlrev_b32_e32 v10, v10, v17
	v_cmp_ne_u32_e32 vcc, v5, v12
	v_cndmask_b32_e64 v5, 0, 1, vcc
	v_cmp_ne_u32_e32 vcc, v10, v14
	v_cndmask_b32_e64 v10, 0, 1, vcc
	v_or_b32_e32 v5, v16, v5
	v_cmp_gt_i32_e32 vcc, 1, v9
	v_cndmask_b32_e32 v5, v13, v5, vcc
	v_or_b32_e32 v10, v17, v10
	v_cmp_gt_i32_e32 vcc, 1, v11
	v_and_b32_e32 v12, 7, v5
	v_cndmask_b32_e32 v10, v15, v10, vcc
	v_cmp_lt_i32_e32 vcc, 5, v12
	v_cmp_eq_u32_e64 s[0:1], 3, v12
	v_lshrrev_b32_e32 v5, 2, v5
	v_and_b32_e32 v13, 7, v10
	s_or_b64 vcc, s[0:1], vcc
	v_cmp_lt_i32_e64 s[2:3], 5, v13
	v_cmp_eq_u32_e64 s[4:5], 3, v13
	v_addc_co_u32_e32 v5, vcc, 0, v5, vcc
	v_lshrrev_b32_e32 v10, 2, v10
	s_or_b64 vcc, s[4:5], s[2:3]
	v_addc_co_u32_e32 v10, vcc, 0, v10, vcc
	v_cmp_gt_i32_e32 vcc, 31, v9
	v_cndmask_b32_e32 v5, v2, v5, vcc
	v_cmp_gt_i32_e32 vcc, 31, v11
	v_lshl_or_b32 v0, v0, 9, v2
	v_cndmask_b32_e32 v10, v2, v10, vcc
	v_cmp_eq_u32_e32 vcc, s18, v9
	v_lshrrev_b32_e32 v6, 16, v6
	v_lshl_or_b32 v7, v7, 9, v2
	v_cndmask_b32_e32 v0, v5, v0, vcc
	v_cmp_eq_u32_e32 vcc, s18, v11
	v_lshrrev_b32_e32 v8, 16, v8
	v_cndmask_b32_e32 v5, v10, v7, vcc
	v_and_or_b32 v0, v6, s17, v0
	v_and_or_b32 v5, v8, s17, v5
	v_and_b32_e32 v0, 0xffff, v0
	v_lshl_or_b32 v0, v5, 16, v0
	global_store_dword v[3:4], v0, off
	global_load_dword v0, v38, s[6:7] offset:3360
	v_lshrrev_b32_e32 v5, 16, v1
	v_mov_b32_e32 v7, s9
	v_add_co_u32_e32 v3, vcc, s8, v3
	v_addc_co_u32_e32 v4, vcc, v4, v7, vcc
	s_waitcnt vmcnt(0)
	v_mul_f16_sdwa v6, v5, v0 dst_sel:DWORD dst_unused:UNUSED_PAD src0_sel:DWORD src1_sel:WORD_1
	v_fma_f16 v6, v1, v0, v6
	v_mul_f16_sdwa v1, v1, v0 dst_sel:DWORD dst_unused:UNUSED_PAD src0_sel:DWORD src1_sel:WORD_1
	v_cvt_f32_f16_e32 v6, v6
	v_fma_f16 v0, v0, v5, -v1
	v_cvt_f32_f16_e32 v5, v0
	v_cvt_f64_f32_e32 v[0:1], v6
	v_cvt_f64_f32_e32 v[5:6], v5
	v_mul_f64 v[0:1], v[0:1], s[14:15]
	v_mul_f64 v[5:6], v[5:6], s[14:15]
	v_and_or_b32 v0, v1, s16, v0
	v_cmp_ne_u32_e32 vcc, 0, v0
	v_and_or_b32 v5, v6, s16, v5
	v_lshrrev_b32_e32 v7, 8, v1
	v_bfe_u32 v8, v1, 20, 11
	v_cndmask_b32_e64 v0, 0, 1, vcc
	v_cmp_ne_u32_e32 vcc, 0, v5
	v_lshrrev_b32_e32 v9, 8, v6
	v_bfe_u32 v10, v6, 20, 11
	v_sub_u32_e32 v11, 0x3f1, v8
	v_cndmask_b32_e64 v5, 0, 1, vcc
	v_and_or_b32 v0, v7, s10, v0
	v_sub_u32_e32 v12, 0x3f1, v10
	v_med3_i32 v7, v11, 0, 13
	v_and_or_b32 v5, v9, s10, v5
	v_or_b32_e32 v11, 0x1000, v0
	v_add_u32_e32 v8, 0xfffffc10, v8
	v_med3_i32 v9, v12, 0, 13
	v_cmp_ne_u32_e32 vcc, 0, v0
	v_or_b32_e32 v13, 0x1000, v5
	v_lshrrev_b32_e32 v15, v7, v11
	v_add_u32_e32 v10, 0xfffffc10, v10
	v_lshl_or_b32 v12, v8, 12, v0
	v_cndmask_b32_e64 v0, 0, 1, vcc
	v_cmp_ne_u32_e32 vcc, 0, v5
	v_lshrrev_b32_e32 v16, v9, v13
	v_lshlrev_b32_e32 v7, v7, v15
	v_lshl_or_b32 v14, v10, 12, v5
	v_cndmask_b32_e64 v5, 0, 1, vcc
	v_lshlrev_b32_e32 v9, v9, v16
	v_cmp_ne_u32_e32 vcc, v7, v11
	v_cndmask_b32_e64 v7, 0, 1, vcc
	v_cmp_ne_u32_e32 vcc, v9, v13
	v_cndmask_b32_e64 v9, 0, 1, vcc
	v_or_b32_e32 v7, v15, v7
	v_cmp_gt_i32_e32 vcc, 1, v8
	v_cndmask_b32_e32 v7, v12, v7, vcc
	v_or_b32_e32 v9, v16, v9
	v_cmp_gt_i32_e32 vcc, 1, v10
	v_and_b32_e32 v11, 7, v7
	v_cndmask_b32_e32 v9, v14, v9, vcc
	v_cmp_lt_i32_e32 vcc, 5, v11
	v_cmp_eq_u32_e64 s[0:1], 3, v11
	v_lshrrev_b32_e32 v7, 2, v7
	v_and_b32_e32 v12, 7, v9
	s_or_b64 vcc, s[0:1], vcc
	v_cmp_lt_i32_e64 s[2:3], 5, v12
	v_cmp_eq_u32_e64 s[4:5], 3, v12
	v_addc_co_u32_e32 v7, vcc, 0, v7, vcc
	v_lshrrev_b32_e32 v9, 2, v9
	s_or_b64 vcc, s[4:5], s[2:3]
	v_addc_co_u32_e32 v9, vcc, 0, v9, vcc
	v_cmp_gt_i32_e32 vcc, 31, v8
	v_cndmask_b32_e32 v7, v2, v7, vcc
	v_cmp_gt_i32_e32 vcc, 31, v10
	v_lshl_or_b32 v0, v0, 9, v2
	v_cndmask_b32_e32 v9, v2, v9, vcc
	v_cmp_eq_u32_e32 vcc, s18, v8
	v_lshrrev_b32_e32 v1, 16, v1
	v_lshl_or_b32 v5, v5, 9, v2
	v_cndmask_b32_e32 v0, v7, v0, vcc
	v_cmp_eq_u32_e32 vcc, s18, v10
	v_lshrrev_b32_e32 v6, 16, v6
	v_cndmask_b32_e32 v5, v9, v5, vcc
	v_and_or_b32 v0, v1, s17, v0
	v_and_or_b32 v1, v6, s17, v5
	v_and_b32_e32 v0, 0xffff, v0
	v_lshl_or_b32 v0, v1, 16, v0
	global_store_dword v[3:4], v0, off
	global_load_dword v5, v38, s[6:7] offset:3696
	v_add_u32_e32 v0, 0xc00, v38
	ds_read2_b32 v[0:1], v0 offset0:156 offset1:240
	v_add_co_u32_e32 v3, vcc, s8, v3
	s_waitcnt lgkmcnt(0)
	v_lshrrev_b32_e32 v6, 16, v0
	s_waitcnt vmcnt(0)
	v_mul_f16_sdwa v7, v6, v5 dst_sel:DWORD dst_unused:UNUSED_PAD src0_sel:DWORD src1_sel:WORD_1
	v_fma_f16 v7, v0, v5, v7
	v_mul_f16_sdwa v0, v0, v5 dst_sel:DWORD dst_unused:UNUSED_PAD src0_sel:DWORD src1_sel:WORD_1
	v_cvt_f32_f16_e32 v7, v7
	v_fma_f16 v0, v5, v6, -v0
	v_cvt_f32_f16_e32 v0, v0
	v_cvt_f64_f32_e32 v[5:6], v7
	v_cvt_f64_f32_e32 v[7:8], v0
	v_mov_b32_e32 v0, s9
	v_mul_f64 v[5:6], v[5:6], s[14:15]
	v_addc_co_u32_e32 v4, vcc, v4, v0, vcc
	v_mul_f64 v[7:8], v[7:8], s[14:15]
	v_and_or_b32 v0, v6, s16, v5
	v_cmp_ne_u32_e32 vcc, 0, v0
	v_lshrrev_b32_e32 v5, 8, v6
	v_and_or_b32 v7, v8, s16, v7
	v_bfe_u32 v9, v6, 20, 11
	v_cndmask_b32_e64 v0, 0, 1, vcc
	v_cmp_ne_u32_e32 vcc, 0, v7
	v_lshrrev_b32_e32 v10, 8, v8
	v_bfe_u32 v11, v8, 20, 11
	v_sub_u32_e32 v12, 0x3f1, v9
	v_cndmask_b32_e64 v7, 0, 1, vcc
	v_and_or_b32 v0, v5, s10, v0
	v_sub_u32_e32 v13, 0x3f1, v11
	v_med3_i32 v5, v12, 0, 13
	v_and_or_b32 v7, v10, s10, v7
	v_or_b32_e32 v12, 0x1000, v0
	v_add_u32_e32 v9, 0xfffffc10, v9
	v_med3_i32 v10, v13, 0, 13
	v_cmp_ne_u32_e32 vcc, 0, v0
	v_or_b32_e32 v14, 0x1000, v7
	v_lshrrev_b32_e32 v16, v5, v12
	v_add_u32_e32 v11, 0xfffffc10, v11
	v_lshl_or_b32 v13, v9, 12, v0
	v_cndmask_b32_e64 v0, 0, 1, vcc
	v_cmp_ne_u32_e32 vcc, 0, v7
	v_lshrrev_b32_e32 v17, v10, v14
	v_lshlrev_b32_e32 v5, v5, v16
	v_lshl_or_b32 v15, v11, 12, v7
	v_cndmask_b32_e64 v7, 0, 1, vcc
	v_lshlrev_b32_e32 v10, v10, v17
	v_cmp_ne_u32_e32 vcc, v5, v12
	v_cndmask_b32_e64 v5, 0, 1, vcc
	v_cmp_ne_u32_e32 vcc, v10, v14
	v_cndmask_b32_e64 v10, 0, 1, vcc
	v_or_b32_e32 v5, v16, v5
	v_cmp_gt_i32_e32 vcc, 1, v9
	v_cndmask_b32_e32 v5, v13, v5, vcc
	v_or_b32_e32 v10, v17, v10
	v_cmp_gt_i32_e32 vcc, 1, v11
	v_and_b32_e32 v12, 7, v5
	v_cndmask_b32_e32 v10, v15, v10, vcc
	v_cmp_lt_i32_e32 vcc, 5, v12
	v_cmp_eq_u32_e64 s[0:1], 3, v12
	v_lshrrev_b32_e32 v5, 2, v5
	v_and_b32_e32 v13, 7, v10
	s_or_b64 vcc, s[0:1], vcc
	v_cmp_lt_i32_e64 s[2:3], 5, v13
	v_cmp_eq_u32_e64 s[4:5], 3, v13
	v_addc_co_u32_e32 v5, vcc, 0, v5, vcc
	v_lshrrev_b32_e32 v10, 2, v10
	s_or_b64 vcc, s[4:5], s[2:3]
	v_addc_co_u32_e32 v10, vcc, 0, v10, vcc
	v_cmp_gt_i32_e32 vcc, 31, v9
	v_cndmask_b32_e32 v5, v2, v5, vcc
	v_cmp_gt_i32_e32 vcc, 31, v11
	v_lshl_or_b32 v0, v0, 9, v2
	v_cndmask_b32_e32 v10, v2, v10, vcc
	v_cmp_eq_u32_e32 vcc, s18, v9
	v_lshrrev_b32_e32 v6, 16, v6
	v_lshl_or_b32 v7, v7, 9, v2
	v_cndmask_b32_e32 v0, v5, v0, vcc
	v_cmp_eq_u32_e32 vcc, s18, v11
	v_lshrrev_b32_e32 v8, 16, v8
	v_cndmask_b32_e32 v5, v10, v7, vcc
	v_and_or_b32 v0, v6, s17, v0
	v_and_or_b32 v5, v8, s17, v5
	v_and_b32_e32 v0, 0xffff, v0
	v_lshl_or_b32 v0, v5, 16, v0
	global_store_dword v[3:4], v0, off
	global_load_dword v0, v38, s[6:7] offset:4032
	v_lshrrev_b32_e32 v6, 16, v1
	v_mov_b32_e32 v5, s7
	v_add_co_u32_e32 v9, vcc, s6, v38
	v_addc_co_u32_e32 v10, vcc, 0, v5, vcc
	s_movk_i32 s0, 0x1000
	v_mov_b32_e32 v11, s9
	s_waitcnt vmcnt(0)
	v_mul_f16_sdwa v7, v6, v0 dst_sel:DWORD dst_unused:UNUSED_PAD src0_sel:DWORD src1_sel:WORD_1
	v_fma_f16 v7, v1, v0, v7
	v_mul_f16_sdwa v1, v1, v0 dst_sel:DWORD dst_unused:UNUSED_PAD src0_sel:DWORD src1_sel:WORD_1
	v_cvt_f32_f16_e32 v7, v7
	v_fma_f16 v0, v0, v6, -v1
	v_cvt_f32_f16_e32 v6, v0
	v_cvt_f64_f32_e32 v[0:1], v7
	v_cvt_f64_f32_e32 v[5:6], v6
	v_mul_f64 v[7:8], v[0:1], s[14:15]
	v_add_co_u32_e32 v0, vcc, s0, v9
	v_mul_f64 v[5:6], v[5:6], s[14:15]
	v_addc_co_u32_e32 v1, vcc, 0, v10, vcc
	v_add_co_u32_e32 v3, vcc, s8, v3
	v_addc_co_u32_e32 v4, vcc, v4, v11, vcc
	v_and_or_b32 v7, v8, s16, v7
	v_and_or_b32 v5, v6, s16, v5
	v_cmp_ne_u32_e32 vcc, 0, v7
	v_lshrrev_b32_e32 v9, 8, v8
	v_bfe_u32 v10, v8, 20, 11
	v_cndmask_b32_e64 v7, 0, 1, vcc
	v_cmp_ne_u32_e32 vcc, 0, v5
	v_lshrrev_b32_e32 v11, 8, v6
	v_bfe_u32 v12, v6, 20, 11
	v_sub_u32_e32 v13, 0x3f1, v10
	v_cndmask_b32_e64 v5, 0, 1, vcc
	v_and_or_b32 v7, v9, s10, v7
	v_sub_u32_e32 v14, 0x3f1, v12
	v_med3_i32 v9, v13, 0, 13
	v_and_or_b32 v5, v11, s10, v5
	v_or_b32_e32 v13, 0x1000, v7
	v_add_u32_e32 v10, 0xfffffc10, v10
	v_med3_i32 v11, v14, 0, 13
	v_cmp_ne_u32_e32 vcc, 0, v7
	v_or_b32_e32 v15, 0x1000, v5
	v_lshrrev_b32_e32 v17, v9, v13
	v_add_u32_e32 v12, 0xfffffc10, v12
	v_lshl_or_b32 v14, v10, 12, v7
	v_cndmask_b32_e64 v7, 0, 1, vcc
	v_cmp_ne_u32_e32 vcc, 0, v5
	v_lshrrev_b32_e32 v18, v11, v15
	v_lshlrev_b32_e32 v9, v9, v17
	v_lshl_or_b32 v16, v12, 12, v5
	v_cndmask_b32_e64 v5, 0, 1, vcc
	v_lshlrev_b32_e32 v11, v11, v18
	v_cmp_ne_u32_e32 vcc, v9, v13
	v_cndmask_b32_e64 v9, 0, 1, vcc
	v_cmp_ne_u32_e32 vcc, v11, v15
	v_cndmask_b32_e64 v11, 0, 1, vcc
	v_or_b32_e32 v9, v17, v9
	v_cmp_gt_i32_e32 vcc, 1, v10
	v_cndmask_b32_e32 v9, v14, v9, vcc
	v_or_b32_e32 v11, v18, v11
	v_cmp_gt_i32_e32 vcc, 1, v12
	v_and_b32_e32 v13, 7, v9
	v_cndmask_b32_e32 v11, v16, v11, vcc
	v_cmp_lt_i32_e32 vcc, 5, v13
	v_cmp_eq_u32_e64 s[0:1], 3, v13
	v_lshrrev_b32_e32 v9, 2, v9
	v_and_b32_e32 v14, 7, v11
	s_or_b64 vcc, s[0:1], vcc
	v_cmp_lt_i32_e64 s[2:3], 5, v14
	v_cmp_eq_u32_e64 s[4:5], 3, v14
	v_addc_co_u32_e32 v9, vcc, 0, v9, vcc
	v_lshrrev_b32_e32 v11, 2, v11
	s_or_b64 vcc, s[4:5], s[2:3]
	v_addc_co_u32_e32 v11, vcc, 0, v11, vcc
	v_cmp_gt_i32_e32 vcc, 31, v10
	v_cndmask_b32_e32 v9, v2, v9, vcc
	v_cmp_gt_i32_e32 vcc, 31, v12
	v_lshl_or_b32 v7, v7, 9, v2
	v_cndmask_b32_e32 v11, v2, v11, vcc
	v_cmp_eq_u32_e32 vcc, s18, v10
	v_lshrrev_b32_e32 v8, 16, v8
	v_lshl_or_b32 v5, v5, 9, v2
	v_cndmask_b32_e32 v7, v9, v7, vcc
	v_cmp_eq_u32_e32 vcc, s18, v12
	v_lshrrev_b32_e32 v6, 16, v6
	v_cndmask_b32_e32 v5, v11, v5, vcc
	v_and_or_b32 v7, v8, s17, v7
	v_and_or_b32 v5, v6, s17, v5
	v_and_b32_e32 v6, 0xffff, v7
	v_lshl_or_b32 v5, v5, 16, v6
	global_store_dword v[3:4], v5, off
	global_load_dword v7, v[0:1], off offset:272
	v_add_u32_e32 v5, 0x1000, v38
	ds_read2_b32 v[5:6], v5 offset0:68 offset1:152
	v_add_co_u32_e32 v3, vcc, s8, v3
	s_waitcnt lgkmcnt(0)
	v_lshrrev_b32_e32 v8, 16, v5
	s_waitcnt vmcnt(0)
	v_mul_f16_sdwa v9, v8, v7 dst_sel:DWORD dst_unused:UNUSED_PAD src0_sel:DWORD src1_sel:WORD_1
	v_fma_f16 v9, v5, v7, v9
	v_mul_f16_sdwa v5, v5, v7 dst_sel:DWORD dst_unused:UNUSED_PAD src0_sel:DWORD src1_sel:WORD_1
	v_cvt_f32_f16_e32 v9, v9
	v_fma_f16 v5, v7, v8, -v5
	v_cvt_f32_f16_e32 v5, v5
	v_cvt_f64_f32_e32 v[7:8], v9
	v_cvt_f64_f32_e32 v[9:10], v5
	v_mov_b32_e32 v5, s9
	v_mul_f64 v[7:8], v[7:8], s[14:15]
	v_addc_co_u32_e32 v4, vcc, v4, v5, vcc
	v_mul_f64 v[9:10], v[9:10], s[14:15]
	v_and_or_b32 v5, v8, s16, v7
	v_cmp_ne_u32_e32 vcc, 0, v5
	v_lshrrev_b32_e32 v7, 8, v8
	v_and_or_b32 v9, v10, s16, v9
	v_bfe_u32 v11, v8, 20, 11
	v_cndmask_b32_e64 v5, 0, 1, vcc
	v_cmp_ne_u32_e32 vcc, 0, v9
	v_lshrrev_b32_e32 v12, 8, v10
	v_bfe_u32 v13, v10, 20, 11
	v_sub_u32_e32 v14, 0x3f1, v11
	v_cndmask_b32_e64 v9, 0, 1, vcc
	v_and_or_b32 v5, v7, s10, v5
	v_sub_u32_e32 v15, 0x3f1, v13
	v_med3_i32 v7, v14, 0, 13
	v_and_or_b32 v9, v12, s10, v9
	v_or_b32_e32 v14, 0x1000, v5
	v_add_u32_e32 v11, 0xfffffc10, v11
	v_med3_i32 v12, v15, 0, 13
	v_cmp_ne_u32_e32 vcc, 0, v5
	v_or_b32_e32 v16, 0x1000, v9
	v_lshrrev_b32_e32 v18, v7, v14
	v_add_u32_e32 v13, 0xfffffc10, v13
	v_lshl_or_b32 v15, v11, 12, v5
	v_cndmask_b32_e64 v5, 0, 1, vcc
	v_cmp_ne_u32_e32 vcc, 0, v9
	v_lshrrev_b32_e32 v19, v12, v16
	v_lshlrev_b32_e32 v7, v7, v18
	v_lshl_or_b32 v17, v13, 12, v9
	v_cndmask_b32_e64 v9, 0, 1, vcc
	v_lshlrev_b32_e32 v12, v12, v19
	v_cmp_ne_u32_e32 vcc, v7, v14
	v_cndmask_b32_e64 v7, 0, 1, vcc
	v_cmp_ne_u32_e32 vcc, v12, v16
	v_cndmask_b32_e64 v12, 0, 1, vcc
	v_or_b32_e32 v7, v18, v7
	v_cmp_gt_i32_e32 vcc, 1, v11
	v_cndmask_b32_e32 v7, v15, v7, vcc
	v_or_b32_e32 v12, v19, v12
	v_cmp_gt_i32_e32 vcc, 1, v13
	v_and_b32_e32 v14, 7, v7
	v_cndmask_b32_e32 v12, v17, v12, vcc
	v_cmp_lt_i32_e32 vcc, 5, v14
	v_cmp_eq_u32_e64 s[0:1], 3, v14
	v_lshrrev_b32_e32 v7, 2, v7
	v_and_b32_e32 v15, 7, v12
	s_or_b64 vcc, s[0:1], vcc
	v_cmp_lt_i32_e64 s[2:3], 5, v15
	v_cmp_eq_u32_e64 s[4:5], 3, v15
	v_addc_co_u32_e32 v7, vcc, 0, v7, vcc
	v_lshrrev_b32_e32 v12, 2, v12
	s_or_b64 vcc, s[4:5], s[2:3]
	v_addc_co_u32_e32 v12, vcc, 0, v12, vcc
	v_cmp_gt_i32_e32 vcc, 31, v11
	v_cndmask_b32_e32 v7, v2, v7, vcc
	v_cmp_gt_i32_e32 vcc, 31, v13
	v_lshl_or_b32 v5, v5, 9, v2
	v_cndmask_b32_e32 v12, v2, v12, vcc
	v_cmp_eq_u32_e32 vcc, s18, v11
	v_lshrrev_b32_e32 v8, 16, v8
	v_lshl_or_b32 v9, v9, 9, v2
	v_cndmask_b32_e32 v5, v7, v5, vcc
	v_cmp_eq_u32_e32 vcc, s18, v13
	v_lshrrev_b32_e32 v10, 16, v10
	v_cndmask_b32_e32 v7, v12, v9, vcc
	v_and_or_b32 v5, v8, s17, v5
	v_and_or_b32 v7, v10, s17, v7
	v_and_b32_e32 v5, 0xffff, v5
	v_lshl_or_b32 v5, v7, 16, v5
	global_store_dword v[3:4], v5, off
	global_load_dword v5, v[0:1], off offset:608
	v_lshrrev_b32_e32 v7, 16, v6
	v_mov_b32_e32 v9, s9
	v_add_co_u32_e32 v3, vcc, s8, v3
	v_addc_co_u32_e32 v4, vcc, v4, v9, vcc
	s_waitcnt vmcnt(0)
	v_mul_f16_sdwa v8, v7, v5 dst_sel:DWORD dst_unused:UNUSED_PAD src0_sel:DWORD src1_sel:WORD_1
	v_fma_f16 v8, v6, v5, v8
	v_mul_f16_sdwa v6, v6, v5 dst_sel:DWORD dst_unused:UNUSED_PAD src0_sel:DWORD src1_sel:WORD_1
	v_cvt_f32_f16_e32 v8, v8
	v_fma_f16 v5, v5, v7, -v6
	v_cvt_f32_f16_e32 v7, v5
	v_cvt_f64_f32_e32 v[5:6], v8
	v_cvt_f64_f32_e32 v[7:8], v7
	v_mul_f64 v[5:6], v[5:6], s[14:15]
	v_mul_f64 v[7:8], v[7:8], s[14:15]
	v_and_or_b32 v5, v6, s16, v5
	v_cmp_ne_u32_e32 vcc, 0, v5
	v_and_or_b32 v7, v8, s16, v7
	v_lshrrev_b32_e32 v9, 8, v6
	v_bfe_u32 v10, v6, 20, 11
	v_cndmask_b32_e64 v5, 0, 1, vcc
	v_cmp_ne_u32_e32 vcc, 0, v7
	v_lshrrev_b32_e32 v11, 8, v8
	v_bfe_u32 v12, v8, 20, 11
	v_sub_u32_e32 v13, 0x3f1, v10
	v_cndmask_b32_e64 v7, 0, 1, vcc
	v_and_or_b32 v5, v9, s10, v5
	v_sub_u32_e32 v14, 0x3f1, v12
	v_med3_i32 v9, v13, 0, 13
	v_and_or_b32 v7, v11, s10, v7
	v_or_b32_e32 v13, 0x1000, v5
	v_add_u32_e32 v10, 0xfffffc10, v10
	v_med3_i32 v11, v14, 0, 13
	v_cmp_ne_u32_e32 vcc, 0, v5
	v_or_b32_e32 v15, 0x1000, v7
	v_lshrrev_b32_e32 v17, v9, v13
	v_add_u32_e32 v12, 0xfffffc10, v12
	v_lshl_or_b32 v14, v10, 12, v5
	v_cndmask_b32_e64 v5, 0, 1, vcc
	v_cmp_ne_u32_e32 vcc, 0, v7
	v_lshrrev_b32_e32 v18, v11, v15
	v_lshlrev_b32_e32 v9, v9, v17
	v_lshl_or_b32 v16, v12, 12, v7
	v_cndmask_b32_e64 v7, 0, 1, vcc
	v_lshlrev_b32_e32 v11, v11, v18
	v_cmp_ne_u32_e32 vcc, v9, v13
	v_cndmask_b32_e64 v9, 0, 1, vcc
	v_cmp_ne_u32_e32 vcc, v11, v15
	v_cndmask_b32_e64 v11, 0, 1, vcc
	v_or_b32_e32 v9, v17, v9
	v_cmp_gt_i32_e32 vcc, 1, v10
	v_cndmask_b32_e32 v9, v14, v9, vcc
	v_or_b32_e32 v11, v18, v11
	v_cmp_gt_i32_e32 vcc, 1, v12
	v_and_b32_e32 v13, 7, v9
	v_cndmask_b32_e32 v11, v16, v11, vcc
	v_cmp_lt_i32_e32 vcc, 5, v13
	v_cmp_eq_u32_e64 s[0:1], 3, v13
	v_lshrrev_b32_e32 v9, 2, v9
	v_and_b32_e32 v14, 7, v11
	s_or_b64 vcc, s[0:1], vcc
	v_cmp_lt_i32_e64 s[2:3], 5, v14
	v_cmp_eq_u32_e64 s[4:5], 3, v14
	v_addc_co_u32_e32 v9, vcc, 0, v9, vcc
	v_lshrrev_b32_e32 v11, 2, v11
	s_or_b64 vcc, s[4:5], s[2:3]
	v_addc_co_u32_e32 v11, vcc, 0, v11, vcc
	v_cmp_gt_i32_e32 vcc, 31, v10
	v_cndmask_b32_e32 v9, v2, v9, vcc
	v_cmp_gt_i32_e32 vcc, 31, v12
	v_lshl_or_b32 v5, v5, 9, v2
	v_cndmask_b32_e32 v11, v2, v11, vcc
	v_cmp_eq_u32_e32 vcc, s18, v10
	v_lshrrev_b32_e32 v6, 16, v6
	v_lshl_or_b32 v7, v7, 9, v2
	v_cndmask_b32_e32 v5, v9, v5, vcc
	v_cmp_eq_u32_e32 vcc, s18, v12
	v_lshrrev_b32_e32 v8, 16, v8
	v_cndmask_b32_e32 v7, v11, v7, vcc
	v_and_or_b32 v5, v6, s17, v5
	v_and_or_b32 v6, v8, s17, v7
	v_and_b32_e32 v5, 0xffff, v5
	v_lshl_or_b32 v5, v6, 16, v5
	global_store_dword v[3:4], v5, off
	global_load_dword v7, v[0:1], off offset:944
	v_add_u32_e32 v5, 0x1200, v38
	ds_read2_b32 v[5:6], v5 offset0:108 offset1:192
	v_add_co_u32_e32 v3, vcc, s8, v3
	s_waitcnt lgkmcnt(0)
	v_lshrrev_b32_e32 v8, 16, v5
	s_waitcnt vmcnt(0)
	v_mul_f16_sdwa v9, v8, v7 dst_sel:DWORD dst_unused:UNUSED_PAD src0_sel:DWORD src1_sel:WORD_1
	v_fma_f16 v9, v5, v7, v9
	v_mul_f16_sdwa v5, v5, v7 dst_sel:DWORD dst_unused:UNUSED_PAD src0_sel:DWORD src1_sel:WORD_1
	v_cvt_f32_f16_e32 v9, v9
	v_fma_f16 v5, v7, v8, -v5
	v_cvt_f32_f16_e32 v5, v5
	v_cvt_f64_f32_e32 v[7:8], v9
	v_cvt_f64_f32_e32 v[9:10], v5
	v_mov_b32_e32 v5, s9
	v_mul_f64 v[7:8], v[7:8], s[14:15]
	v_addc_co_u32_e32 v4, vcc, v4, v5, vcc
	v_mul_f64 v[9:10], v[9:10], s[14:15]
	v_and_or_b32 v5, v8, s16, v7
	v_cmp_ne_u32_e32 vcc, 0, v5
	v_lshrrev_b32_e32 v7, 8, v8
	v_and_or_b32 v9, v10, s16, v9
	v_bfe_u32 v11, v8, 20, 11
	v_cndmask_b32_e64 v5, 0, 1, vcc
	v_cmp_ne_u32_e32 vcc, 0, v9
	v_lshrrev_b32_e32 v12, 8, v10
	v_bfe_u32 v13, v10, 20, 11
	v_sub_u32_e32 v14, 0x3f1, v11
	v_cndmask_b32_e64 v9, 0, 1, vcc
	v_and_or_b32 v5, v7, s10, v5
	v_sub_u32_e32 v15, 0x3f1, v13
	v_med3_i32 v7, v14, 0, 13
	v_and_or_b32 v9, v12, s10, v9
	v_or_b32_e32 v14, 0x1000, v5
	v_add_u32_e32 v11, 0xfffffc10, v11
	v_med3_i32 v12, v15, 0, 13
	v_cmp_ne_u32_e32 vcc, 0, v5
	v_or_b32_e32 v16, 0x1000, v9
	v_lshrrev_b32_e32 v18, v7, v14
	v_add_u32_e32 v13, 0xfffffc10, v13
	v_lshl_or_b32 v15, v11, 12, v5
	v_cndmask_b32_e64 v5, 0, 1, vcc
	v_cmp_ne_u32_e32 vcc, 0, v9
	v_lshrrev_b32_e32 v19, v12, v16
	v_lshlrev_b32_e32 v7, v7, v18
	v_lshl_or_b32 v17, v13, 12, v9
	v_cndmask_b32_e64 v9, 0, 1, vcc
	v_lshlrev_b32_e32 v12, v12, v19
	v_cmp_ne_u32_e32 vcc, v7, v14
	v_cndmask_b32_e64 v7, 0, 1, vcc
	v_cmp_ne_u32_e32 vcc, v12, v16
	v_cndmask_b32_e64 v12, 0, 1, vcc
	v_or_b32_e32 v7, v18, v7
	v_cmp_gt_i32_e32 vcc, 1, v11
	v_cndmask_b32_e32 v7, v15, v7, vcc
	v_or_b32_e32 v12, v19, v12
	v_cmp_gt_i32_e32 vcc, 1, v13
	v_and_b32_e32 v14, 7, v7
	v_cndmask_b32_e32 v12, v17, v12, vcc
	v_cmp_lt_i32_e32 vcc, 5, v14
	v_cmp_eq_u32_e64 s[0:1], 3, v14
	v_lshrrev_b32_e32 v7, 2, v7
	v_and_b32_e32 v15, 7, v12
	s_or_b64 vcc, s[0:1], vcc
	v_cmp_lt_i32_e64 s[2:3], 5, v15
	v_cmp_eq_u32_e64 s[4:5], 3, v15
	v_addc_co_u32_e32 v7, vcc, 0, v7, vcc
	v_lshrrev_b32_e32 v12, 2, v12
	s_or_b64 vcc, s[4:5], s[2:3]
	v_addc_co_u32_e32 v12, vcc, 0, v12, vcc
	v_cmp_gt_i32_e32 vcc, 31, v11
	v_cndmask_b32_e32 v7, v2, v7, vcc
	v_cmp_gt_i32_e32 vcc, 31, v13
	v_lshl_or_b32 v5, v5, 9, v2
	v_cndmask_b32_e32 v12, v2, v12, vcc
	v_cmp_eq_u32_e32 vcc, s18, v11
	v_lshrrev_b32_e32 v8, 16, v8
	v_lshl_or_b32 v9, v9, 9, v2
	v_cndmask_b32_e32 v5, v7, v5, vcc
	v_cmp_eq_u32_e32 vcc, s18, v13
	v_lshrrev_b32_e32 v10, 16, v10
	v_cndmask_b32_e32 v7, v12, v9, vcc
	v_and_or_b32 v5, v8, s17, v5
	v_and_or_b32 v7, v10, s17, v7
	v_and_b32_e32 v5, 0xffff, v5
	v_lshl_or_b32 v5, v7, 16, v5
	global_store_dword v[3:4], v5, off
	global_load_dword v0, v[0:1], off offset:1280
	v_lshrrev_b32_e32 v1, 16, v6
	v_mov_b32_e32 v7, s9
	s_waitcnt vmcnt(0)
	v_mul_f16_sdwa v5, v1, v0 dst_sel:DWORD dst_unused:UNUSED_PAD src0_sel:DWORD src1_sel:WORD_1
	v_fma_f16 v5, v6, v0, v5
	v_mul_f16_sdwa v6, v6, v0 dst_sel:DWORD dst_unused:UNUSED_PAD src0_sel:DWORD src1_sel:WORD_1
	v_cvt_f32_f16_e32 v5, v5
	v_fma_f16 v0, v0, v1, -v6
	v_cvt_f32_f16_e32 v6, v0
	v_cvt_f64_f32_e32 v[0:1], v5
	v_cvt_f64_f32_e32 v[5:6], v6
	v_mul_f64 v[0:1], v[0:1], s[14:15]
	v_mul_f64 v[5:6], v[5:6], s[14:15]
	v_and_or_b32 v0, v1, s16, v0
	v_cmp_ne_u32_e32 vcc, 0, v0
	v_and_or_b32 v5, v6, s16, v5
	v_lshrrev_b32_e32 v8, 8, v1
	v_bfe_u32 v9, v1, 20, 11
	v_cndmask_b32_e64 v0, 0, 1, vcc
	v_cmp_ne_u32_e32 vcc, 0, v5
	v_lshrrev_b32_e32 v10, 8, v6
	v_bfe_u32 v11, v6, 20, 11
	v_sub_u32_e32 v12, 0x3f1, v9
	v_cndmask_b32_e64 v5, 0, 1, vcc
	v_and_or_b32 v0, v8, s10, v0
	v_sub_u32_e32 v13, 0x3f1, v11
	v_med3_i32 v8, v12, 0, 13
	v_and_or_b32 v5, v10, s10, v5
	v_or_b32_e32 v12, 0x1000, v0
	v_add_u32_e32 v9, 0xfffffc10, v9
	v_med3_i32 v10, v13, 0, 13
	v_cmp_ne_u32_e32 vcc, 0, v0
	v_or_b32_e32 v14, 0x1000, v5
	v_lshrrev_b32_e32 v16, v8, v12
	v_add_u32_e32 v11, 0xfffffc10, v11
	v_lshl_or_b32 v13, v9, 12, v0
	v_cndmask_b32_e64 v0, 0, 1, vcc
	v_cmp_ne_u32_e32 vcc, 0, v5
	v_lshrrev_b32_e32 v17, v10, v14
	v_lshlrev_b32_e32 v8, v8, v16
	v_lshl_or_b32 v15, v11, 12, v5
	v_cndmask_b32_e64 v5, 0, 1, vcc
	v_lshlrev_b32_e32 v10, v10, v17
	v_cmp_ne_u32_e32 vcc, v8, v12
	v_cndmask_b32_e64 v8, 0, 1, vcc
	v_cmp_ne_u32_e32 vcc, v10, v14
	v_cndmask_b32_e64 v10, 0, 1, vcc
	v_or_b32_e32 v8, v16, v8
	v_cmp_gt_i32_e32 vcc, 1, v9
	v_cndmask_b32_e32 v8, v13, v8, vcc
	v_or_b32_e32 v10, v17, v10
	v_cmp_gt_i32_e32 vcc, 1, v11
	v_and_b32_e32 v12, 7, v8
	v_cndmask_b32_e32 v10, v15, v10, vcc
	v_cmp_lt_i32_e32 vcc, 5, v12
	v_cmp_eq_u32_e64 s[0:1], 3, v12
	v_lshrrev_b32_e32 v8, 2, v8
	v_and_b32_e32 v13, 7, v10
	s_or_b64 vcc, s[0:1], vcc
	v_cmp_lt_i32_e64 s[2:3], 5, v13
	v_cmp_eq_u32_e64 s[4:5], 3, v13
	v_addc_co_u32_e32 v8, vcc, 0, v8, vcc
	v_lshrrev_b32_e32 v10, 2, v10
	s_or_b64 vcc, s[4:5], s[2:3]
	v_addc_co_u32_e32 v10, vcc, 0, v10, vcc
	v_cmp_gt_i32_e32 vcc, 31, v9
	v_cndmask_b32_e32 v8, v2, v8, vcc
	v_cmp_gt_i32_e32 vcc, 31, v11
	v_lshl_or_b32 v0, v0, 9, v2
	v_lshl_or_b32 v5, v5, 9, v2
	v_cndmask_b32_e32 v2, v2, v10, vcc
	v_cmp_eq_u32_e32 vcc, s18, v9
	v_lshrrev_b32_e32 v1, 16, v1
	v_cndmask_b32_e32 v0, v8, v0, vcc
	v_cmp_eq_u32_e32 vcc, s18, v11
	v_lshrrev_b32_e32 v6, 16, v6
	v_cndmask_b32_e32 v2, v2, v5, vcc
	v_and_or_b32 v0, v1, s17, v0
	v_and_or_b32 v1, v6, s17, v2
	v_and_b32_e32 v0, 0xffff, v0
	v_lshl_or_b32 v2, v1, 16, v0
	v_add_co_u32_e32 v0, vcc, s8, v3
	v_addc_co_u32_e32 v1, vcc, v4, v7, vcc
	global_store_dword v[0:1], v2, off
.LBB0_23:
	s_endpgm
	.section	.rodata,"a",@progbits
	.p2align	6, 0x0
	.amdhsa_kernel bluestein_single_back_len1428_dim1_half_op_CI_CI
		.amdhsa_group_segment_fixed_size 5712
		.amdhsa_private_segment_fixed_size 0
		.amdhsa_kernarg_size 104
		.amdhsa_user_sgpr_count 6
		.amdhsa_user_sgpr_private_segment_buffer 1
		.amdhsa_user_sgpr_dispatch_ptr 0
		.amdhsa_user_sgpr_queue_ptr 0
		.amdhsa_user_sgpr_kernarg_segment_ptr 1
		.amdhsa_user_sgpr_dispatch_id 0
		.amdhsa_user_sgpr_flat_scratch_init 0
		.amdhsa_user_sgpr_private_segment_size 0
		.amdhsa_uses_dynamic_stack 0
		.amdhsa_system_sgpr_private_segment_wavefront_offset 0
		.amdhsa_system_sgpr_workgroup_id_x 1
		.amdhsa_system_sgpr_workgroup_id_y 0
		.amdhsa_system_sgpr_workgroup_id_z 0
		.amdhsa_system_sgpr_workgroup_info 0
		.amdhsa_system_vgpr_workitem_id 0
		.amdhsa_next_free_vgpr 231
		.amdhsa_next_free_sgpr 50
		.amdhsa_reserve_vcc 1
		.amdhsa_reserve_flat_scratch 0
		.amdhsa_float_round_mode_32 0
		.amdhsa_float_round_mode_16_64 0
		.amdhsa_float_denorm_mode_32 3
		.amdhsa_float_denorm_mode_16_64 3
		.amdhsa_dx10_clamp 1
		.amdhsa_ieee_mode 1
		.amdhsa_fp16_overflow 0
		.amdhsa_exception_fp_ieee_invalid_op 0
		.amdhsa_exception_fp_denorm_src 0
		.amdhsa_exception_fp_ieee_div_zero 0
		.amdhsa_exception_fp_ieee_overflow 0
		.amdhsa_exception_fp_ieee_underflow 0
		.amdhsa_exception_fp_ieee_inexact 0
		.amdhsa_exception_int_div_zero 0
	.end_amdhsa_kernel
	.text
.Lfunc_end0:
	.size	bluestein_single_back_len1428_dim1_half_op_CI_CI, .Lfunc_end0-bluestein_single_back_len1428_dim1_half_op_CI_CI
                                        ; -- End function
	.section	.AMDGPU.csdata,"",@progbits
; Kernel info:
; codeLenInByte = 29512
; NumSgprs: 54
; NumVgprs: 231
; ScratchSize: 0
; MemoryBound: 0
; FloatMode: 240
; IeeeMode: 1
; LDSByteSize: 5712 bytes/workgroup (compile time only)
; SGPRBlocks: 6
; VGPRBlocks: 57
; NumSGPRsForWavesPerEU: 54
; NumVGPRsForWavesPerEU: 231
; Occupancy: 1
; WaveLimiterHint : 1
; COMPUTE_PGM_RSRC2:SCRATCH_EN: 0
; COMPUTE_PGM_RSRC2:USER_SGPR: 6
; COMPUTE_PGM_RSRC2:TRAP_HANDLER: 0
; COMPUTE_PGM_RSRC2:TGID_X_EN: 1
; COMPUTE_PGM_RSRC2:TGID_Y_EN: 0
; COMPUTE_PGM_RSRC2:TGID_Z_EN: 0
; COMPUTE_PGM_RSRC2:TIDIG_COMP_CNT: 0
	.type	__hip_cuid_d331ddc0fcb35422,@object ; @__hip_cuid_d331ddc0fcb35422
	.section	.bss,"aw",@nobits
	.globl	__hip_cuid_d331ddc0fcb35422
__hip_cuid_d331ddc0fcb35422:
	.byte	0                               ; 0x0
	.size	__hip_cuid_d331ddc0fcb35422, 1

	.ident	"AMD clang version 19.0.0git (https://github.com/RadeonOpenCompute/llvm-project roc-6.4.0 25133 c7fe45cf4b819c5991fe208aaa96edf142730f1d)"
	.section	".note.GNU-stack","",@progbits
	.addrsig
	.addrsig_sym __hip_cuid_d331ddc0fcb35422
	.amdgpu_metadata
---
amdhsa.kernels:
  - .args:
      - .actual_access:  read_only
        .address_space:  global
        .offset:         0
        .size:           8
        .value_kind:     global_buffer
      - .actual_access:  read_only
        .address_space:  global
        .offset:         8
        .size:           8
        .value_kind:     global_buffer
      - .actual_access:  read_only
        .address_space:  global
        .offset:         16
        .size:           8
        .value_kind:     global_buffer
      - .actual_access:  read_only
        .address_space:  global
        .offset:         24
        .size:           8
        .value_kind:     global_buffer
      - .actual_access:  read_only
        .address_space:  global
        .offset:         32
        .size:           8
        .value_kind:     global_buffer
      - .offset:         40
        .size:           8
        .value_kind:     by_value
      - .address_space:  global
        .offset:         48
        .size:           8
        .value_kind:     global_buffer
      - .address_space:  global
        .offset:         56
        .size:           8
        .value_kind:     global_buffer
      - .address_space:  global
        .offset:         64
        .size:           8
        .value_kind:     global_buffer
      - .address_space:  global
        .offset:         72
        .size:           8
        .value_kind:     global_buffer
      - .offset:         80
        .size:           4
        .value_kind:     by_value
      - .address_space:  global
        .offset:         88
        .size:           8
        .value_kind:     global_buffer
      - .address_space:  global
        .offset:         96
        .size:           8
        .value_kind:     global_buffer
    .group_segment_fixed_size: 5712
    .kernarg_segment_align: 8
    .kernarg_segment_size: 104
    .language:       OpenCL C
    .language_version:
      - 2
      - 0
    .max_flat_workgroup_size: 119
    .name:           bluestein_single_back_len1428_dim1_half_op_CI_CI
    .private_segment_fixed_size: 0
    .sgpr_count:     54
    .sgpr_spill_count: 0
    .symbol:         bluestein_single_back_len1428_dim1_half_op_CI_CI.kd
    .uniform_work_group_size: 1
    .uses_dynamic_stack: false
    .vgpr_count:     231
    .vgpr_spill_count: 0
    .wavefront_size: 64
amdhsa.target:   amdgcn-amd-amdhsa--gfx906
amdhsa.version:
  - 1
  - 2
...

	.end_amdgpu_metadata
